;; amdgpu-corpus repo=ROCm/rocFFT kind=compiled arch=gfx90a opt=O3
	.text
	.amdgcn_target "amdgcn-amd-amdhsa--gfx90a"
	.amdhsa_code_object_version 6
	.protected	bluestein_single_back_len1092_dim1_dp_op_CI_CI ; -- Begin function bluestein_single_back_len1092_dim1_dp_op_CI_CI
	.globl	bluestein_single_back_len1092_dim1_dp_op_CI_CI
	.p2align	8
	.type	bluestein_single_back_len1092_dim1_dp_op_CI_CI,@function
bluestein_single_back_len1092_dim1_dp_op_CI_CI: ; @bluestein_single_back_len1092_dim1_dp_op_CI_CI
; %bb.0:
	s_load_dwordx4 s[12:15], s[4:5], 0x28
	v_mul_u32_u24_e32 v1, 0x4ed, v0
	v_add_u32_sdwa v6, s6, v1 dst_sel:DWORD dst_unused:UNUSED_PAD src0_sel:DWORD src1_sel:WORD_1
	v_mov_b32_e32 v7, 0
	s_waitcnt lgkmcnt(0)
	v_cmp_gt_u64_e32 vcc, s[12:13], v[6:7]
	s_and_saveexec_b64 s[0:1], vcc
	s_cbranch_execz .LBB0_31
; %bb.1:
	s_load_dwordx4 s[0:3], s[4:5], 0x18
	s_load_dwordx2 s[16:17], s[4:5], 0x0
	v_mov_b32_e32 v2, 52
	v_mul_lo_u16_sdwa v1, v1, v2 dst_sel:DWORD dst_unused:UNUSED_PAD src0_sel:WORD_1 src1_sel:DWORD
	v_sub_u16_e32 v200, v0, v1
	s_waitcnt lgkmcnt(0)
	s_load_dwordx4 s[8:11], s[0:1], 0x0
	v_lshlrev_b32_e32 v210, 4, v200
	v_add_co_u32_e64 v42, s[6:7], s16, v210
	global_load_dwordx4 v[44:47], v210, s[16:17]
	s_waitcnt lgkmcnt(0)
	v_mad_u64_u32 v[0:1], s[0:1], s10, v6, 0
	v_mov_b32_e32 v4, v1
	v_mad_u64_u32 v[2:3], s[0:1], s8, v200, 0
	v_mad_u64_u32 v[4:5], s[0:1], s11, v6, v[4:5]
	v_mov_b32_e32 v1, v4
	v_mov_b32_e32 v4, v3
	v_mad_u64_u32 v[4:5], s[0:1], s9, v200, v[4:5]
	v_lshlrev_b64 v[0:1], 4, v[0:1]
	v_mov_b32_e32 v3, v4
	v_mov_b32_e32 v4, s15
	v_add_co_u32_e32 v5, vcc, s14, v0
	v_addc_co_u32_e32 v4, vcc, v4, v1, vcc
	v_lshlrev_b64 v[0:1], 4, v[2:3]
	s_mul_i32 s0, s9, 0x222
	s_mul_hi_u32 s1, s8, 0x222
	v_add_co_u32_e32 v0, vcc, v5, v0
	v_mov_b32_e32 v2, s17
	s_add_i32 s1, s1, s0
	s_mul_i32 s0, s8, 0x222
	v_addc_co_u32_e32 v1, vcc, v4, v1, vcc
	v_addc_co_u32_e64 v43, vcc, 0, v2, s[6:7]
	s_lshl_b64 s[14:15], s[0:1], 4
	v_mov_b32_e32 v41, s15
	v_add_co_u32_e32 v2, vcc, s14, v0
	v_addc_co_u32_e32 v3, vcc, v1, v41, vcc
	s_movk_i32 s0, 0x2000
	s_mul_hi_u32 s1, s8, 0xfffffe12
	v_add_co_u32_e32 v14, vcc, s0, v42
	s_mul_i32 s0, s9, 0xfffffe12
	s_sub_i32 s1, s1, s8
	s_add_i32 s1, s1, s0
	s_mul_i32 s0, s8, 0xfffffe12
	v_addc_co_u32_e32 v15, vcc, 0, v43, vcc
	s_lshl_b64 s[18:19], s[0:1], 4
	global_load_dwordx4 v[16:19], v[0:1], off
	global_load_dwordx4 v[20:23], v[2:3], off
	v_mov_b32_e32 v40, s19
	v_add_co_u32_e32 v0, vcc, s18, v2
	global_load_dwordx4 v[34:37], v[14:15], off offset:544
	v_addc_co_u32_e32 v1, vcc, v3, v40, vcc
	global_load_dwordx4 v[24:27], v[0:1], off
	global_load_dwordx4 v[48:51], v210, s[16:17] offset:832
	v_add_co_u32_e32 v4, vcc, s14, v0
	v_addc_co_u32_e32 v5, vcc, v1, v41, vcc
	v_add_co_u32_e32 v8, vcc, s18, v4
	v_addc_co_u32_e32 v9, vcc, v5, v40, vcc
	;; [unrolled: 2-line block ×3, first 2 shown]
	global_load_dwordx4 v[124:127], v[14:15], off offset:1376
	global_load_dwordx4 v[0:3], v[4:5], off
	s_load_dwordx2 s[12:13], s[4:5], 0x38
	s_load_dwordx4 s[8:11], s[2:3], 0x0
	v_accvgpr_write_b32 a48, v6
	global_load_dwordx4 v[4:7], v[8:9], off
	s_movk_i32 s0, 0x1000
	global_load_dwordx4 v[8:11], v[32:33], off
	v_accvgpr_write_b32 a0, v42
	v_accvgpr_write_b32 a1, v43
	s_waitcnt vmcnt(9)
	v_accvgpr_write_b32 a16, v44
	v_accvgpr_write_b32 a17, v45
	;; [unrolled: 1-line block ×4, first 2 shown]
	s_waitcnt vmcnt(8)
	v_mul_f64 v[28:29], v[18:19], v[46:47]
	v_mul_f64 v[12:13], v[16:17], v[46:47]
	v_fmac_f64_e32 v[28:29], v[16:17], v[44:45]
	v_fma_f64 v[30:31], v[18:19], v[44:45], -v[12:13]
	ds_write_b128 v210, v[28:31]
	s_waitcnt vmcnt(6)
	v_mul_f64 v[16:17], v[22:23], v[36:37]
	v_mul_f64 v[12:13], v[20:21], v[36:37]
	v_fmac_f64_e32 v[16:17], v[20:21], v[34:35]
	v_fma_f64 v[18:19], v[22:23], v[34:35], -v[12:13]
	s_waitcnt vmcnt(4)
	v_mul_f64 v[20:21], v[26:27], v[50:51]
	v_mul_f64 v[12:13], v[24:25], v[50:51]
	v_fmac_f64_e32 v[20:21], v[24:25], v[48:49]
	v_fma_f64 v[22:23], v[26:27], v[48:49], -v[12:13]
	ds_write_b128 v210, v[20:23] offset:832
	v_add_co_u32_e32 v20, vcc, s18, v32
	v_addc_co_u32_e32 v21, vcc, v33, v40, vcc
	ds_write_b128 v210, v[16:19] offset:8736
	v_add_co_u32_e32 v24, vcc, s14, v20
	global_load_dwordx4 v[16:19], v[20:21], off
	global_load_dwordx4 v[140:143], v210, s[16:17] offset:1664
	global_load_dwordx4 v[116:119], v210, s[16:17] offset:2496
	v_addc_co_u32_e32 v25, vcc, v21, v41, vcc
	v_add_co_u32_e32 v28, vcc, s18, v24
	global_load_dwordx4 v[20:23], v[24:25], off
	global_load_dwordx4 v[136:139], v[14:15], off offset:2208
	global_load_dwordx4 v[128:131], v[14:15], off offset:3040
	v_addc_co_u32_e32 v29, vcc, v25, v40, vcc
	v_add_co_u32_e32 v32, vcc, s14, v28
	v_addc_co_u32_e32 v33, vcc, v29, v41, vcc
	global_load_dwordx4 v[24:27], v[28:29], off
	global_load_dwordx4 v[92:95], v210, s[16:17] offset:3328
	s_nop 0
	global_load_dwordx4 v[28:31], v[32:33], off
	global_load_dwordx4 v[84:87], v[14:15], off offset:3872
	v_add_co_u32_e32 v14, vcc, s18, v32
	v_addc_co_u32_e32 v15, vcc, v33, v40, vcc
	v_add_co_u32_e32 v70, vcc, s0, v42
	v_accvgpr_write_b32 a8, v34
	v_addc_co_u32_e32 v71, vcc, 0, v43, vcc
	v_accvgpr_write_b32 a9, v35
	v_accvgpr_write_b32 a10, v36
	;; [unrolled: 1-line block ×3, first 2 shown]
	global_load_dwordx4 v[32:35], v[14:15], off
	v_add_co_u32_e32 v14, vcc, s14, v14
	v_addc_co_u32_e32 v15, vcc, v15, v41, vcc
	s_movk_i32 s0, 0x3000
	global_load_dwordx4 v[112:115], v[70:71], off offset:64
	v_add_co_u32_e32 v74, vcc, s0, v42
	v_addc_co_u32_e32 v75, vcc, 0, v43, vcc
	global_load_dwordx4 v[132:135], v[74:75], off offset:608
	global_load_dwordx4 v[36:39], v[14:15], off
	v_add_co_u32_e32 v14, vcc, s18, v14
	v_addc_co_u32_e32 v15, vcc, v15, v40, vcc
	global_load_dwordx4 v[42:45], v[14:15], off
	global_load_dwordx4 v[96:99], v[70:71], off offset:896
	v_add_co_u32_e32 v14, vcc, s14, v14
	v_accvgpr_write_b32 a53, v51
	v_addc_co_u32_e32 v15, vcc, v15, v41, vcc
	v_accvgpr_write_b32 a52, v50
	v_accvgpr_write_b32 a51, v49
	;; [unrolled: 1-line block ×3, first 2 shown]
	global_load_dwordx4 v[46:49], v[14:15], off
	global_load_dwordx4 v[88:91], v[74:75], off offset:1440
	v_add_co_u32_e32 v14, vcc, s18, v14
	v_addc_co_u32_e32 v15, vcc, v15, v40, vcc
	global_load_dwordx4 v[50:53], v[14:15], off
	global_load_dwordx4 v[108:111], v[70:71], off offset:1728
	v_add_co_u32_e32 v14, vcc, s14, v14
	v_addc_co_u32_e32 v15, vcc, v15, v41, vcc
	;; [unrolled: 4-line block ×6, first 2 shown]
	global_load_dwordx4 v[70:73], v[40:41], off
	global_load_dwordx4 v[104:107], v[74:75], off offset:3936
	s_waitcnt vmcnt(32)
	v_mul_f64 v[12:13], v[2:3], v[126:127]
	v_fmac_f64_e32 v[12:13], v[0:1], v[124:125]
	v_mul_f64 v[0:1], v[0:1], v[126:127]
	v_fma_f64 v[14:15], v[2:3], v[124:125], -v[0:1]
	s_waitcnt vmcnt(28)
	v_mul_f64 v[0:1], v[6:7], v[142:143]
	v_mul_f64 v[2:3], v[4:5], v[142:143]
	v_fmac_f64_e32 v[0:1], v[4:5], v[140:141]
	v_fma_f64 v[2:3], v[6:7], v[140:141], -v[2:3]
	ds_write_b128 v210, v[0:3] offset:1664
	s_waitcnt vmcnt(25)
	v_mul_f64 v[0:1], v[10:11], v[138:139]
	v_mul_f64 v[2:3], v[8:9], v[138:139]
	v_fmac_f64_e32 v[0:1], v[8:9], v[136:137]
	v_fma_f64 v[2:3], v[10:11], v[136:137], -v[2:3]
	ds_write_b128 v210, v[0:3] offset:10400
	v_mul_f64 v[0:1], v[18:19], v[118:119]
	v_mul_f64 v[2:3], v[16:17], v[118:119]
	v_fmac_f64_e32 v[0:1], v[16:17], v[116:117]
	v_fma_f64 v[2:3], v[18:19], v[116:117], -v[2:3]
	ds_write_b128 v210, v[0:3] offset:2496
	s_waitcnt vmcnt(24)
	v_mul_f64 v[0:1], v[22:23], v[130:131]
	v_mul_f64 v[2:3], v[20:21], v[130:131]
	v_fmac_f64_e32 v[0:1], v[20:21], v[128:129]
	v_fma_f64 v[2:3], v[22:23], v[128:129], -v[2:3]
	ds_write_b128 v210, v[0:3] offset:11232
	s_waitcnt vmcnt(22)
	;; [unrolled: 6-line block ×12, first 2 shown]
	v_mul_f64 v[0:1], v[68:69], v[102:103]
	v_mul_f64 v[2:3], v[66:67], v[102:103]
	v_fmac_f64_e32 v[0:1], v[66:67], v[100:101]
	v_fma_f64 v[2:3], v[68:69], v[100:101], -v[2:3]
	v_accvgpr_write_b32 a66, v124
	v_accvgpr_write_b32 a82, v140
	;; [unrolled: 1-line block ×16, first 2 shown]
	ds_write_b128 v210, v[0:3] offset:7488
	s_waitcnt vmcnt(0)
	v_mul_f64 v[0:1], v[72:73], v[106:107]
	v_mul_f64 v[2:3], v[70:71], v[106:107]
	v_accvgpr_write_b32 a40, v104
	v_accvgpr_write_b32 a67, v125
	;; [unrolled: 1-line block ×49, first 2 shown]
	v_fmac_f64_e32 v[0:1], v[70:71], v[104:105]
	v_accvgpr_write_b32 a41, v105
	v_accvgpr_write_b32 a42, v106
	v_accvgpr_write_b32 a43, v107
	v_fma_f64 v[2:3], v[72:73], v[104:105], -v[2:3]
	v_cmp_gt_u16_e64 s[0:1], 26, v200
	ds_write_b128 v210, v[12:15] offset:9568
	ds_write_b128 v210, v[0:3] offset:16224
	s_and_saveexec_b64 s[2:3], s[0:1]
	s_cbranch_execz .LBB0_3
; %bb.2:
	v_mov_b32_e32 v0, s19
	v_add_co_u32_e32 v8, vcc, s18, v40
	v_addc_co_u32_e32 v9, vcc, v41, v0, vcc
	v_accvgpr_read_b32 v11, a0
	v_add_co_u32_e32 v4, vcc, 0x2000, v11
	v_accvgpr_read_b32 v12, a1
	v_addc_co_u32_e32 v5, vcc, 0, v12, vcc
	v_mov_b32_e32 v10, s15
	v_add_co_u32_e32 v16, vcc, s14, v8
	v_addc_co_u32_e32 v17, vcc, v9, v10, vcc
	s_movk_i32 s14, 0x4000
	v_add_co_u32_e32 v18, vcc, s14, v11
	global_load_dwordx4 v[0:3], v[8:9], off
	v_addc_co_u32_e32 v19, vcc, 0, v12, vcc
	global_load_dwordx4 v[4:7], v[4:5], off offset:128
	s_nop 0
	global_load_dwordx4 v[8:11], v[18:19], off offset:672
	global_load_dwordx4 v[12:15], v[16:17], off
	s_waitcnt vmcnt(2)
	v_mul_f64 v[16:17], v[2:3], v[6:7]
	v_mul_f64 v[6:7], v[0:1], v[6:7]
	v_fmac_f64_e32 v[16:17], v[0:1], v[4:5]
	v_fma_f64 v[18:19], v[2:3], v[4:5], -v[6:7]
	s_waitcnt vmcnt(0)
	v_mul_f64 v[0:1], v[14:15], v[10:11]
	v_mul_f64 v[2:3], v[12:13], v[10:11]
	v_fmac_f64_e32 v[0:1], v[12:13], v[8:9]
	v_fma_f64 v[2:3], v[14:15], v[8:9], -v[2:3]
	ds_write_b128 v210, v[16:19] offset:8320
	ds_write_b128 v210, v[0:3] offset:17056
.LBB0_3:
	s_or_b64 exec, exec, s[2:3]
	s_waitcnt lgkmcnt(0)
	; wave barrier
	s_waitcnt lgkmcnt(0)
	ds_read_b128 v[80:83], v210
	ds_read_b128 v[68:71], v210 offset:832
	ds_read_b128 v[84:87], v210 offset:8736
	;; [unrolled: 1-line block ×19, first 2 shown]
                                        ; implicit-def: $vgpr4_vgpr5
                                        ; implicit-def: $vgpr16_vgpr17
	s_and_saveexec_b64 s[2:3], s[0:1]
	s_cbranch_execz .LBB0_5
; %bb.4:
	ds_read_b128 v[4:7], v210 offset:8320
	ds_read_b128 v[16:19], v210 offset:17056
.LBB0_5:
	s_or_b64 exec, exec, s[2:3]
	s_waitcnt lgkmcnt(0)
	v_add_f64 v[88:89], v[0:1], -v[8:9]
	v_add_f64 v[84:85], v[80:81], -v[84:85]
	;; [unrolled: 1-line block ×3, first 2 shown]
	v_fma_f64 v[92:93], v[0:1], 2.0, -v[88:89]
	v_add_f64 v[0:1], v[4:5], -v[16:17]
	v_add_co_u32_e32 v100, vcc, 52, v200
	v_fma_f64 v[80:81], v[80:81], 2.0, -v[84:85]
	v_fma_f64 v[82:83], v[82:83], 2.0, -v[86:87]
	;; [unrolled: 1-line block ×3, first 2 shown]
	v_lshlrev_b32_e32 v4, 5, v200
	s_movk_i32 s2, 0x68
	v_add_f64 v[76:77], v[68:69], -v[76:77]
	v_add_f64 v[78:79], v[70:71], -v[78:79]
	s_waitcnt lgkmcnt(0)
	; wave barrier
	ds_write_b128 v4, v[80:83]
	v_accvgpr_write_b32 a94, v4
	ds_write_b128 v4, v[84:87] offset:16
	v_lshlrev_b32_e32 v4, 1, v100
	v_add_co_u32_e32 v99, vcc, s2, v200
	v_fma_f64 v[68:69], v[68:69], 2.0, -v[76:77]
	v_fma_f64 v[70:71], v[70:71], 2.0, -v[78:79]
	v_accvgpr_write_b32 a166, v4
	v_lshlrev_b32_e32 v4, 5, v100
	v_lshlrev_b32_e32 v105, 1, v200
	v_add_f64 v[72:73], v[64:65], -v[72:73]
	v_add_f64 v[74:75], v[66:67], -v[74:75]
	ds_write_b128 v4, v[68:71]
	v_accvgpr_write_b32 a95, v4
	ds_write_b128 v4, v[76:79] offset:16
	v_lshlrev_b32_e32 v4, 1, v99
	s_movk_i32 s2, 0xd0
	v_fma_f64 v[64:65], v[64:65], 2.0, -v[72:73]
	v_fma_f64 v[66:67], v[66:67], 2.0, -v[74:75]
	v_accvgpr_write_b32 a117, v4
	v_lshlrev_b32_e32 v4, 5, v99
	v_add_u32_e32 v69, 0x138, v105
	v_add_co_u32_e32 v96, vcc, s2, v200
	s_movk_i32 s2, 0x104
	v_add_f64 v[60:61], v[52:53], -v[60:61]
	v_add_f64 v[62:63], v[54:55], -v[62:63]
	;; [unrolled: 1-line block ×4, first 2 shown]
	ds_write_b128 v4, v[64:67]
	v_accvgpr_write_b32 a96, v4
	ds_write_b128 v4, v[72:75] offset:16
	v_lshlrev_b32_e32 v4, 4, v69
	v_add_co_u32_e32 v97, vcc, s2, v200
	s_movk_i32 s2, 0x138
	v_fma_f64 v[52:53], v[52:53], 2.0, -v[60:61]
	v_fma_f64 v[54:55], v[54:55], 2.0, -v[62:63]
	;; [unrolled: 1-line block ×4, first 2 shown]
	v_add_f64 v[44:45], v[36:37], -v[44:45]
	v_add_f64 v[46:47], v[38:39], -v[46:47]
	v_lshlrev_b32_e32 v5, 4, v105
	v_accvgpr_write_b32 a97, v4
	ds_write_b128 v4, v[60:63] offset:16
	v_lshlrev_b32_e32 v4, 5, v96
	v_add_co_u32_e32 v98, vcc, s2, v200
	v_fma_f64 v[36:37], v[36:37], 2.0, -v[44:45]
	v_fma_f64 v[38:39], v[38:39], 2.0, -v[46:47]
	v_add_f64 v[40:41], v[32:33], -v[40:41]
	v_add_f64 v[42:43], v[34:35], -v[42:43]
	ds_write_b128 v5, v[52:55] offset:4992
	ds_write_b128 v4, v[48:51]
	v_accvgpr_write_b32 a99, v4
	ds_write_b128 v4, v[56:59] offset:16
	v_lshlrev_b32_e32 v4, 5, v97
	v_fma_f64 v[32:33], v[32:33], 2.0, -v[40:41]
	v_fma_f64 v[34:35], v[34:35], 2.0, -v[42:43]
	ds_write_b128 v4, v[36:39]
	v_accvgpr_write_b32 a100, v4
	ds_write_b128 v4, v[44:47] offset:16
	v_lshlrev_b32_e32 v4, 5, v98
	v_add_u32_e32 v67, 0x2d8, v105
	s_load_dwordx2 s[4:5], s[4:5], 0x8
	v_add_f64 v[28:29], v[20:21], -v[28:29]
	v_add_f64 v[30:31], v[22:23], -v[30:31]
	ds_write_b128 v4, v[32:35]
	v_accvgpr_write_b32 a101, v4
	ds_write_b128 v4, v[40:43] offset:16
	v_lshlrev_b32_e32 v4, 4, v67
	v_add_u32_e32 v68, 0x340, v105
	s_movk_i32 s2, 0x208
	v_fma_f64 v[20:21], v[20:21], 2.0, -v[28:29]
	v_fma_f64 v[22:23], v[22:23], 2.0, -v[30:31]
	v_add_f64 v[24:25], v[12:13], -v[24:25]
	v_add_f64 v[26:27], v[14:15], -v[26:27]
	v_accvgpr_write_b32 a102, v4
	ds_write_b128 v4, v[28:31] offset:16
	v_lshlrev_b32_e32 v4, 4, v68
	v_add_u32_e32 v64, 0x3a8, v105
	v_add_co_u32_e32 v104, vcc, s2, v200
	v_fma_f64 v[12:13], v[12:13], 2.0, -v[24:25]
	v_fma_f64 v[14:15], v[14:15], 2.0, -v[26:27]
	v_add_f64 v[90:91], v[2:3], -v[10:11]
	ds_write_b128 v5, v[20:23] offset:11648
	v_accvgpr_write_b32 a103, v4
	ds_write_b128 v4, v[24:27] offset:16
	v_lshlrev_b32_e32 v4, 4, v64
	v_fma_f64 v[94:95], v[2:3], 2.0, -v[90:91]
	v_add_f64 v[2:3], v[6:7], -v[18:19]
	ds_write_b128 v5, v[12:15] offset:13312
	v_accvgpr_write_b32 a104, v4
	ds_write_b128 v4, v[88:91] offset:16
	v_lshlrev_b32_e32 v4, 5, v104
	v_fma_f64 v[10:11], v[6:7], 2.0, -v[2:3]
	v_accvgpr_write_b32 a116, v100
	v_accvgpr_write_b32 a134, v99
	v_lshlrev_b32_e32 v70, 1, v96
	v_lshlrev_b32_e32 v65, 1, v97
	;; [unrolled: 1-line block ×3, first 2 shown]
	v_accvgpr_write_b32 a158, v5
	v_accvgpr_write_b32 a98, v4
	ds_write_b128 v5, v[92:95] offset:14976
	s_and_saveexec_b64 s[2:3], s[0:1]
	s_cbranch_execz .LBB0_7
; %bb.6:
	v_accvgpr_read_b32 v4, a98
	ds_write_b128 v4, v[8:11]
	ds_write_b128 v4, v[0:3] offset:16
.LBB0_7:
	s_or_b64 exec, exec, s[2:3]
	s_waitcnt lgkmcnt(0)
	; wave barrier
	s_waitcnt lgkmcnt(0)
	ds_read_b128 v[16:19], v210
	ds_read_b128 v[20:23], v210 offset:832
	ds_read_b128 v[12:15], v210 offset:8736
	;; [unrolled: 1-line block ×19, first 2 shown]
	s_and_saveexec_b64 s[2:3], s[0:1]
	s_cbranch_execz .LBB0_9
; %bb.8:
	ds_read_b128 v[8:11], v210 offset:8320
	ds_read_b128 v[0:3], v210 offset:17056
.LBB0_9:
	s_or_b64 exec, exec, s[2:3]
	v_and_b32_e32 v146, 1, v200
	v_lshlrev_b32_e32 v71, 4, v146
	global_load_dwordx4 v[128:131], v71, s[4:5]
	s_movk_i32 s2, 0x7c
	s_waitcnt lgkmcnt(0)
	; wave barrier
	s_waitcnt lgkmcnt(0)
	s_movk_i32 s3, 0x2fc
	v_accvgpr_write_b32 a49, v146
	s_waitcnt vmcnt(0)
	v_mul_f64 v[78:79], v[4:5], v[130:131]
	v_mul_f64 v[106:107], v[38:39], v[130:131]
	;; [unrolled: 1-line block ×10, first 2 shown]
	v_fmac_f64_e32 v[78:79], v[6:7], v[128:129]
	v_fma_f64 v[6:7], v[36:37], v[128:129], -v[106:107]
	v_fmac_f64_e32 v[132:133], v[50:51], v[128:129]
	v_fma_f64 v[106:107], v[0:1], v[128:129], -v[142:143]
	v_mul_f64 v[108:109], v[36:37], v[130:131]
	v_mul_f64 v[112:113], v[24:25], v[130:131]
	;; [unrolled: 1-line block ×7, first 2 shown]
	v_fma_f64 v[12:13], v[12:13], v[128:129], -v[72:73]
	v_fmac_f64_e32 v[74:75], v[14:15], v[128:129]
	v_fma_f64 v[4:5], v[4:5], v[128:129], -v[76:77]
	v_fma_f64 v[14:15], v[24:25], v[128:129], -v[110:111]
	;; [unrolled: 1-line block ×4, first 2 shown]
	v_add_f64 v[44:45], v[32:33], -v[6:7]
	v_add_f64 v[6:7], v[98:99], -v[132:133]
	;; [unrolled: 1-line block ×3, first 2 shown]
	v_mul_f64 v[120:121], v[40:41], v[130:131]
	v_mul_f64 v[122:123], v[54:55], v[130:131]
	v_fmac_f64_e32 v[108:109], v[38:39], v[128:129]
	v_fmac_f64_e32 v[112:113], v[26:27], v[128:129]
	v_fma_f64 v[26:27], v[40:41], v[128:129], -v[118:119]
	v_fma_f64 v[60:61], v[60:61], v[128:129], -v[134:135]
	v_fmac_f64_e32 v[136:137], v[62:63], v[128:129]
	v_fma_f64 v[62:63], v[56:57], v[128:129], -v[138:139]
	v_add_f64 v[36:37], v[16:17], -v[12:13]
	v_add_f64 v[38:39], v[18:19], -v[74:75]
	;; [unrolled: 1-line block ×4, first 2 shown]
	v_fma_f64 v[76:77], v[32:33], 2.0, -v[44:45]
	v_fma_f64 v[32:33], v[8:9], 2.0, -v[132:133]
	v_and_or_b32 v8, v105, s2, v146
	v_mul_f64 v[124:125], v[52:53], v[130:131]
	v_fma_f64 v[72:73], v[52:53], v[128:129], -v[122:123]
	v_add_f64 v[52:53], v[84:85], -v[24:25]
	v_add_f64 v[12:13], v[100:101], -v[60:61]
	;; [unrolled: 1-line block ×3, first 2 shown]
	v_fma_f64 v[60:61], v[16:17], 2.0, -v[36:37]
	v_fma_f64 v[62:63], v[18:19], 2.0, -v[38:39]
	v_lshlrev_b32_e32 v8, 4, v8
	ds_write_b128 v8, v[60:63]
	v_accvgpr_write_b32 a105, v8
	ds_write_b128 v8, v[36:39] offset:32
	s_movk_i32 s2, 0xfc
	v_accvgpr_read_b32 v8, a166
	v_fmac_f64_e32 v[120:121], v[42:43], v[128:129]
	v_add_f64 v[42:43], v[22:23], -v[78:79]
	v_and_or_b32 v8, v8, s2, v146
	v_mul_f64 v[144:145], v[0:1], v[130:131]
	v_add_f64 v[0:1], v[92:93], -v[72:73]
	v_fma_f64 v[72:73], v[20:21], 2.0, -v[40:41]
	v_fma_f64 v[74:75], v[22:23], 2.0, -v[42:43]
	v_lshlrev_b32_e32 v8, 4, v8
	ds_write_b128 v8, v[72:75]
	v_accvgpr_write_b32 a106, v8
	ds_write_b128 v8, v[40:43] offset:32
	s_movk_i32 s2, 0x1fc
	v_accvgpr_read_b32 v8, a117
	v_fmac_f64_e32 v[116:117], v[46:47], v[128:129]
	v_add_f64 v[46:47], v[34:35], -v[108:109]
	v_and_or_b32 v8, v8, s2, v146
	v_fma_f64 v[78:79], v[34:35], 2.0, -v[46:47]
	v_lshlrev_b32_e32 v8, 4, v8
	v_add_f64 v[48:49], v[80:81], -v[14:15]
	v_add_f64 v[50:51], v[82:83], -v[112:113]
	ds_write_b128 v8, v[76:79]
	v_accvgpr_write_b32 a107, v8
	ds_write_b128 v8, v[44:47] offset:32
	v_and_or_b32 v8, v69, s2, v146
	v_fma_f64 v[80:81], v[80:81], 2.0, -v[48:49]
	v_fma_f64 v[82:83], v[82:83], 2.0, -v[50:51]
	v_lshlrev_b32_e32 v8, 4, v8
	s_movk_i32 s2, 0x3fc
	v_fmac_f64_e32 v[124:125], v[54:55], v[128:129]
	v_add_f64 v[54:55], v[86:87], -v[116:117]
	ds_write_b128 v8, v[80:83]
	v_accvgpr_write_b32 a108, v8
	ds_write_b128 v8, v[48:51] offset:32
	v_and_or_b32 v8, v70, s2, v146
	v_mul_f64 v[140:141], v[56:57], v[130:131]
	v_fma_f64 v[84:85], v[84:85], 2.0, -v[52:53]
	v_fma_f64 v[86:87], v[86:87], 2.0, -v[54:55]
	v_lshlrev_b32_e32 v8, 4, v8
	v_fmac_f64_e32 v[140:141], v[58:59], v[128:129]
	v_add_f64 v[56:57], v[88:89], -v[26:27]
	v_add_f64 v[58:59], v[90:91], -v[120:121]
	ds_write_b128 v8, v[84:87]
	v_accvgpr_write_b32 a109, v8
	ds_write_b128 v8, v[52:55] offset:32
	v_and_or_b32 v8, v65, s3, v146
	v_fma_f64 v[88:89], v[88:89], 2.0, -v[56:57]
	v_fma_f64 v[90:91], v[90:91], 2.0, -v[58:59]
	v_lshlrev_b32_e32 v8, 4, v8
	v_fmac_f64_e32 v[144:145], v[2:3], v[128:129]
	v_add_f64 v[2:3], v[94:95], -v[124:125]
	ds_write_b128 v8, v[88:91]
	v_accvgpr_write_b32 a110, v8
	ds_write_b128 v8, v[56:59] offset:32
	v_and_or_b32 v8, v66, s3, v146
	v_fma_f64 v[92:93], v[92:93], 2.0, -v[0:1]
	v_fma_f64 v[94:95], v[94:95], 2.0, -v[2:3]
	v_lshlrev_b32_e32 v8, 4, v8
	ds_write_b128 v8, v[92:95]
	v_accvgpr_write_b32 a111, v8
	ds_write_b128 v8, v[0:3] offset:32
	v_and_or_b32 v8, v67, s2, v146
	v_fma_f64 v[16:17], v[96:97], 2.0, -v[4:5]
	v_fma_f64 v[18:19], v[98:99], 2.0, -v[6:7]
	v_lshlrev_b32_e32 v8, 4, v8
	v_add_f64 v[14:15], v[102:103], -v[136:137]
	ds_write_b128 v8, v[16:19]
	v_accvgpr_write_b32 a112, v8
	ds_write_b128 v8, v[4:7] offset:32
	v_and_or_b32 v8, v68, s2, v146
	v_fma_f64 v[20:21], v[100:101], 2.0, -v[12:13]
	v_fma_f64 v[22:23], v[102:103], 2.0, -v[14:15]
	v_lshlrev_b32_e32 v8, 4, v8
	s_movk_i32 s2, 0x7fc
	v_add_f64 v[26:27], v[30:31], -v[140:141]
	ds_write_b128 v8, v[20:23]
	v_accvgpr_write_b32 a113, v8
	ds_write_b128 v8, v[12:15] offset:32
	v_and_or_b32 v8, v64, s2, v146
	v_fma_f64 v[28:29], v[28:29], 2.0, -v[24:25]
	v_fma_f64 v[30:31], v[30:31], 2.0, -v[26:27]
	v_lshlrev_b32_e32 v8, 4, v8
	v_add_f64 v[134:135], v[10:11], -v[144:145]
	ds_write_b128 v8, v[28:31]
	v_accvgpr_write_b32 a114, v8
	ds_write_b128 v8, v[24:27] offset:32
	v_lshlrev_b32_e32 v8, 1, v104
	v_fma_f64 v[34:35], v[10:11], 2.0, -v[134:135]
	v_accvgpr_write_b32 a115, v8
	s_and_saveexec_b64 s[2:3], s[0:1]
	s_cbranch_execz .LBB0_11
; %bb.10:
	s_movk_i32 s14, 0x47c
	v_accvgpr_read_b32 v8, a49
	v_accvgpr_read_b32 v9, a115
	v_and_or_b32 v8, v9, s14, v8
	v_lshlrev_b32_e32 v8, 4, v8
	ds_write_b128 v8, v[32:35]
	ds_write_b128 v8, v[132:135] offset:32
.LBB0_11:
	s_or_b64 exec, exec, s[2:3]
	s_waitcnt lgkmcnt(0)
	; wave barrier
	s_waitcnt lgkmcnt(0)
	ds_read_b128 v[8:11], v210
	ds_read_b128 v[180:183], v210 offset:1344
	ds_read_b128 v[176:179], v210 offset:2688
	;; [unrolled: 1-line block ×12, first 2 shown]
	v_cmp_gt_u16_e64 s[2:3], 32, v200
                                        ; implicit-def: $vgpr184_vgpr185
                                        ; implicit-def: $vgpr188_vgpr189
                                        ; implicit-def: $vgpr192_vgpr193
                                        ; implicit-def: $vgpr196_vgpr197
	s_and_saveexec_b64 s[14:15], s[2:3]
	s_cbranch_execz .LBB0_13
; %bb.12:
	ds_read_b128 v[0:3], v210 offset:832
	ds_read_b128 v[16:19], v210 offset:2176
	;; [unrolled: 1-line block ×13, first 2 shown]
.LBB0_13:
	s_or_b64 exec, exec, s[14:15]
	v_and_b32_e32 v211, 3, v200
	v_mul_u32_u24_e32 v36, 12, v211
	v_lshlrev_b32_e32 v36, 4, v36
	global_load_dwordx4 v[84:87], v36, s[4:5] offset:32
	global_load_dwordx4 v[226:229], v36, s[4:5] offset:48
	;; [unrolled: 1-line block ×12, first 2 shown]
	s_mov_b32 s40, 0x4267c47c
	s_mov_b32 s34, 0x42a4c3d2
	s_mov_b32 s28, 0x66966769
	s_mov_b32 s30, 0x2ef20147
	s_mov_b32 s36, 0x24c2f84
	s_mov_b32 s38, 0x4bc48dbf
	v_accvgpr_write_b32 a2, v200
	s_mov_b32 s41, 0xbfddbe06
	s_mov_b32 s14, 0xe00740e9
	;; [unrolled: 1-line block ×30, first 2 shown]
	v_accvgpr_write_b32 a3, v211
	s_waitcnt lgkmcnt(0)
	; wave barrier
	s_waitcnt vmcnt(11) lgkmcnt(0)
	v_mul_f64 v[52:53], v[182:183], v[86:87]
	v_mul_f64 v[82:83], v[180:181], v[86:87]
	s_waitcnt vmcnt(9)
	v_mul_f64 v[58:59], v[174:175], v[90:91]
	v_mul_f64 v[214:215], v[18:19], v[86:87]
	;; [unrolled: 1-line block ×4, first 2 shown]
	v_accvgpr_write_b32 a89, v87
	v_mul_f64 v[56:57], v[178:179], v[228:229]
	v_mul_f64 v[62:63], v[172:173], v[90:91]
	s_waitcnt vmcnt(7)
	v_mul_f64 v[66:67], v[166:167], v[98:99]
	s_waitcnt vmcnt(3)
	v_mul_f64 v[202:203], v[150:151], v[126:127]
	v_mul_f64 v[42:43], v[4:5], v[228:229]
	v_fma_f64 v[180:181], v[180:181], v[84:85], -v[52:53]
	v_fmac_f64_e32 v[82:83], v[182:183], v[84:85]
	v_fma_f64 v[78:79], v[172:173], v[88:89], -v[58:59]
	v_fma_f64 v[172:173], v[16:17], v[84:85], -v[214:215]
	v_accvgpr_write_b32 a88, v86
	v_accvgpr_write_b32 a87, v85
	;; [unrolled: 1-line block ×3, first 2 shown]
	v_fmac_f64_e32 v[40:41], v[18:19], v[84:85]
	v_fma_f64 v[84:85], v[4:5], v[226:227], -v[216:217]
	v_mul_f64 v[4:5], v[34:35], v[110:111]
	v_mul_f64 v[74:75], v[176:177], v[228:229]
	v_fma_f64 v[176:177], v[176:177], v[226:227], -v[56:57]
	v_fma_f64 v[56:57], v[164:165], v[96:97], -v[66:67]
	;; [unrolled: 1-line block ×4, first 2 shown]
	v_mul_f64 v[4:5], v[134:135], v[102:103]
	v_fma_f64 v[182:183], v[132:133], v[100:101], -v[4:5]
	v_mul_f64 v[4:5], v[186:187], v[126:127]
	v_mul_f64 v[76:77], v[154:155], v[102:103]
	v_fmac_f64_e32 v[74:75], v[178:179], v[226:227]
	v_fma_f64 v[178:179], v[184:185], v[124:125], -v[4:5]
	s_waitcnt vmcnt(2)
	v_mul_f64 v[4:5], v[190:191], v[122:123]
	v_fma_f64 v[58:59], v[152:153], v[100:101], -v[76:77]
	v_mul_f64 v[76:77], v[132:133], v[102:103]
	v_mul_f64 v[132:133], v[184:185], v[126:127]
	v_fma_f64 v[184:185], v[188:189], v[120:121], -v[4:5]
	s_waitcnt vmcnt(1)
	v_mul_f64 v[4:5], v[194:195], v[118:119]
	v_fmac_f64_e32 v[132:133], v[186:187], v[124:125]
	v_fma_f64 v[186:187], v[192:193], v[116:117], -v[4:5]
	s_waitcnt vmcnt(0)
	v_mul_f64 v[4:5], v[198:199], v[106:107]
	v_fmac_f64_e32 v[76:77], v[134:135], v[100:101]
	v_mul_f64 v[134:135], v[188:189], v[122:123]
	v_fma_f64 v[188:189], v[196:197], v[104:105], -v[4:5]
	v_add_f64 v[4:5], v[8:9], v[180:181]
	v_mul_f64 v[64:65], v[170:171], v[94:95]
	v_add_f64 v[4:5], v[4:5], v[176:177]
	v_fma_f64 v[64:65], v[168:169], v[92:93], -v[64:65]
	v_add_f64 v[4:5], v[4:5], v[78:79]
	v_mul_f64 v[68:69], v[162:163], v[114:115]
	v_add_f64 v[4:5], v[4:5], v[64:65]
	v_mul_f64 v[36:37], v[160:161], v[114:115]
	v_mul_f64 v[72:73], v[158:159], v[110:111]
	v_fma_f64 v[160:161], v[160:161], v[112:113], -v[68:69]
	v_fmac_f64_e32 v[42:43], v[6:7], v[226:227]
	v_add_f64 v[6:7], v[10:11], v[82:83]
	v_add_f64 v[4:5], v[4:5], v[56:57]
	v_mul_f64 v[54:55], v[168:169], v[94:95]
	v_fmac_f64_e32 v[62:63], v[174:175], v[88:89]
	v_fma_f64 v[52:53], v[156:157], v[108:109], -v[72:73]
	v_add_f64 v[6:7], v[6:7], v[74:75]
	v_add_f64 v[4:5], v[4:5], v[160:161]
	v_mul_f64 v[50:51], v[164:165], v[98:99]
	v_fmac_f64_e32 v[54:55], v[170:171], v[92:93]
	v_add_f64 v[6:7], v[6:7], v[62:63]
	v_add_f64 v[4:5], v[4:5], v[52:53]
	v_mul_f64 v[204:205], v[146:147], v[122:123]
	v_mul_f64 v[212:213], v[136:137], v[106:107]
	v_fmac_f64_e32 v[50:51], v[166:167], v[96:97]
	v_add_f64 v[6:7], v[6:7], v[54:55]
	v_add_f64 v[4:5], v[4:5], v[58:59]
	v_mul_f64 v[38:39], v[156:157], v[110:111]
	v_mul_f64 v[70:71], v[144:145], v[122:123]
	;; [unrolled: 1-line block ×4, first 2 shown]
	v_fmac_f64_e32 v[36:37], v[162:163], v[112:113]
	v_fma_f64 v[144:145], v[144:145], v[120:121], -v[204:205]
	v_fmac_f64_e32 v[212:213], v[138:139], v[104:105]
	v_add_f64 v[6:7], v[6:7], v[50:51]
	v_add_f64 v[4:5], v[4:5], v[66:67]
	v_mul_f64 v[200:201], v[152:153], v[102:103]
	v_mul_f64 v[80:81], v[140:141], v[118:119]
	;; [unrolled: 1-line block ×7, first 2 shown]
	v_fmac_f64_e32 v[38:39], v[158:159], v[108:109]
	v_fma_f64 v[140:141], v[140:141], v[116:117], -v[206:207]
	v_fma_f64 v[136:137], v[136:137], v[104:105], -v[208:209]
	v_accvgpr_write_b32 a177, v91
	v_add_f64 v[6:7], v[6:7], v[36:37]
	v_add_f64 v[4:5], v[4:5], v[144:145]
	v_add_f64 v[18:19], v[82:83], -v[212:213]
	v_mul_f64 v[60:61], v[148:149], v[126:127]
	v_mul_f64 v[48:49], v[28:29], v[98:99]
	;; [unrolled: 1-line block ×3, first 2 shown]
	v_fmac_f64_e32 v[200:201], v[154:155], v[100:101]
	v_fmac_f64_e32 v[70:71], v[146:147], v[120:121]
	v_fma_f64 v[86:87], v[20:21], v[88:89], -v[218:219]
	v_accvgpr_write_b32 a176, v90
	v_accvgpr_write_b32 a175, v89
	;; [unrolled: 1-line block ×3, first 2 shown]
	v_fmac_f64_e32 v[44:45], v[22:23], v[88:89]
	v_fma_f64 v[88:89], v[12:13], v[92:93], -v[220:221]
	v_fmac_f64_e32 v[46:47], v[14:15], v[92:93]
	v_fma_f64 v[90:91], v[28:29], v[96:97], -v[222:223]
	v_add_f64 v[6:7], v[6:7], v[38:39]
	v_add_f64 v[4:5], v[4:5], v[140:141]
	;; [unrolled: 1-line block ×4, first 2 shown]
	v_add_f64 v[16:17], v[180:181], -v[136:137]
	v_mul_f64 v[20:21], v[18:19], s[40:41]
	v_mul_f64 v[28:29], v[18:19], s[34:35]
	;; [unrolled: 1-line block ×6, first 2 shown]
	v_fmac_f64_e32 v[60:61], v[150:151], v[124:125]
	v_fmac_f64_e32 v[80:81], v[142:143], v[116:117]
	;; [unrolled: 1-line block ×3, first 2 shown]
	v_fma_f64 v[174:175], v[24:25], v[112:113], -v[224:225]
	v_mul_f64 v[68:69], v[24:25], v[114:115]
	v_mul_f64 v[72:73], v[32:33], v[110:111]
	v_add_f64 v[6:7], v[6:7], v[200:201]
	v_add_f64 v[4:5], v[4:5], v[136:137]
	v_fma_f64 v[22:23], v[12:13], s[14:15], -v[20:21]
	v_mul_f64 v[24:25], v[16:17], s[40:41]
	v_fmac_f64_e32 v[20:21], s[14:15], v[12:13]
	v_fma_f64 v[30:31], v[12:13], s[18:19], -v[28:29]
	v_mul_f64 v[32:33], v[16:17], s[34:35]
	v_fmac_f64_e32 v[28:29], s[18:19], v[12:13]
	v_fma_f64 v[136:137], v[12:13], s[20:21], -v[82:83]
	v_mul_f64 v[138:139], v[16:17], s[28:29]
	v_fmac_f64_e32 v[82:83], s[20:21], v[12:13]
	v_fma_f64 v[148:149], v[12:13], s[26:27], -v[146:147]
	v_mul_f64 v[150:151], v[16:17], s[30:31]
	v_fmac_f64_e32 v[146:147], s[26:27], v[12:13]
	v_fma_f64 v[156:157], v[12:13], s[22:23], -v[154:155]
	v_mul_f64 v[158:159], v[16:17], s[36:37]
	v_fmac_f64_e32 v[154:155], s[22:23], v[12:13]
	v_fma_f64 v[168:169], v[12:13], s[24:25], -v[18:19]
	v_mul_f64 v[16:17], v[16:17], s[38:39]
	v_fmac_f64_e32 v[18:19], s[24:25], v[12:13]
	v_fmac_f64_e32 v[68:69], v[26:27], v[112:113]
	v_fmac_f64_e32 v[72:73], v[34:35], v[108:109]
	v_add_f64 v[6:7], v[6:7], v[60:61]
	v_add_f64 v[22:23], v[8:9], v[22:23]
	v_fma_f64 v[26:27], s[14:15], v[14:15], v[24:25]
	v_add_f64 v[20:21], v[8:9], v[20:21]
	v_fma_f64 v[24:25], v[14:15], s[14:15], -v[24:25]
	v_add_f64 v[30:31], v[8:9], v[30:31]
	v_fma_f64 v[34:35], s[18:19], v[14:15], v[32:33]
	v_add_f64 v[28:29], v[8:9], v[28:29]
	v_fma_f64 v[32:33], v[14:15], s[18:19], -v[32:33]
	;; [unrolled: 4-line block ×6, first 2 shown]
	v_add_f64 v[18:19], v[74:75], -v[80:81]
	v_add_f64 v[6:7], v[6:7], v[70:71]
	v_add_f64 v[26:27], v[10:11], v[26:27]
	;; [unrolled: 1-line block ×15, first 2 shown]
	v_mul_f64 v[74:75], v[18:19], s[34:35]
	v_add_f64 v[6:7], v[6:7], v[80:81]
	v_add_f64 v[16:17], v[176:177], -v[140:141]
	v_fma_f64 v[80:81], v[12:13], s[18:19], -v[74:75]
	v_add_f64 v[22:23], v[80:81], v[22:23]
	v_mul_f64 v[80:81], v[16:17], s[34:35]
	v_fmac_f64_e32 v[74:75], s[18:19], v[12:13]
	v_add_f64 v[20:21], v[74:75], v[20:21]
	v_fma_f64 v[74:75], v[14:15], s[18:19], -v[80:81]
	v_add_f64 v[24:25], v[74:75], v[24:25]
	v_mul_f64 v[74:75], v[18:19], s[30:31]
	v_fma_f64 v[140:141], s[18:19], v[14:15], v[80:81]
	v_fma_f64 v[80:81], v[12:13], s[26:27], -v[74:75]
	v_add_f64 v[30:31], v[80:81], v[30:31]
	v_mul_f64 v[80:81], v[16:17], s[30:31]
	v_fmac_f64_e32 v[74:75], s[26:27], v[12:13]
	v_add_f64 v[28:29], v[74:75], v[28:29]
	v_fma_f64 v[74:75], v[14:15], s[26:27], -v[80:81]
	v_add_f64 v[32:33], v[74:75], v[32:33]
	v_mul_f64 v[74:75], v[18:19], s[38:39]
	v_add_f64 v[26:27], v[140:141], v[26:27]
	v_fma_f64 v[140:141], s[26:27], v[14:15], v[80:81]
	v_fma_f64 v[80:81], v[12:13], s[24:25], -v[74:75]
	v_add_f64 v[80:81], v[80:81], v[136:137]
	v_mul_f64 v[136:137], v[16:17], s[38:39]
	v_fmac_f64_e32 v[74:75], s[24:25], v[12:13]
	v_add_f64 v[34:35], v[140:141], v[34:35]
	v_fma_f64 v[140:141], s[24:25], v[14:15], v[136:137]
	v_add_f64 v[74:75], v[74:75], v[82:83]
	v_fma_f64 v[82:83], v[14:15], s[24:25], -v[136:137]
	v_mul_f64 v[136:137], v[18:19], s[46:47]
	v_add_f64 v[140:141], v[140:141], v[142:143]
	v_add_f64 v[82:83], v[82:83], v[138:139]
	v_fma_f64 v[138:139], v[12:13], s[22:23], -v[136:137]
	v_mul_f64 v[142:143], v[16:17], s[46:47]
	v_fmac_f64_e32 v[136:137], s[22:23], v[12:13]
	v_add_f64 v[138:139], v[138:139], v[148:149]
	v_fma_f64 v[148:149], s[22:23], v[14:15], v[142:143]
	v_add_f64 v[136:137], v[136:137], v[146:147]
	v_fma_f64 v[142:143], v[14:15], s[22:23], -v[142:143]
	v_mul_f64 v[146:147], v[18:19], s[42:43]
	v_add_f64 v[142:143], v[142:143], v[150:151]
	v_fma_f64 v[150:151], v[12:13], s[20:21], -v[146:147]
	v_fmac_f64_e32 v[146:147], s[20:21], v[12:13]
	v_mul_f64 v[18:19], v[18:19], s[44:45]
	v_add_f64 v[148:149], v[148:149], v[152:153]
	v_mul_f64 v[152:153], v[16:17], s[42:43]
	v_add_f64 v[146:147], v[146:147], v[154:155]
	v_fma_f64 v[154:155], v[12:13], s[14:15], -v[18:19]
	v_mul_f64 v[16:17], v[16:17], s[44:45]
	v_fmac_f64_e32 v[18:19], s[14:15], v[12:13]
	v_add_f64 v[150:151], v[150:151], v[156:157]
	v_fma_f64 v[156:157], s[20:21], v[14:15], v[152:153]
	v_fma_f64 v[152:153], v[14:15], s[20:21], -v[152:153]
	v_add_f64 v[8:9], v[18:19], v[8:9]
	v_fma_f64 v[12:13], v[14:15], s[14:15], -v[16:17]
	v_add_f64 v[18:19], v[62:63], -v[70:71]
	v_add_f64 v[152:153], v[152:153], v[158:159]
	v_fma_f64 v[158:159], s[14:15], v[14:15], v[16:17]
	v_add_f64 v[10:11], v[12:13], v[10:11]
	v_add_f64 v[12:13], v[78:79], v[144:145]
	;; [unrolled: 1-line block ×3, first 2 shown]
	v_mul_f64 v[62:63], v[18:19], s[28:29]
	v_add_f64 v[16:17], v[78:79], -v[144:145]
	v_fma_f64 v[70:71], v[12:13], s[20:21], -v[62:63]
	v_add_f64 v[22:23], v[70:71], v[22:23]
	v_mul_f64 v[70:71], v[16:17], s[28:29]
	v_fmac_f64_e32 v[62:63], s[20:21], v[12:13]
	v_add_f64 v[20:21], v[62:63], v[20:21]
	v_fma_f64 v[62:63], v[14:15], s[20:21], -v[70:71]
	v_add_f64 v[24:25], v[62:63], v[24:25]
	v_mul_f64 v[62:63], v[18:19], s[38:39]
	v_fma_f64 v[78:79], s[20:21], v[14:15], v[70:71]
	v_fma_f64 v[70:71], v[12:13], s[24:25], -v[62:63]
	v_add_f64 v[30:31], v[70:71], v[30:31]
	v_mul_f64 v[70:71], v[16:17], s[38:39]
	v_fmac_f64_e32 v[62:63], s[24:25], v[12:13]
	v_add_f64 v[28:29], v[62:63], v[28:29]
	v_fma_f64 v[62:63], v[14:15], s[24:25], -v[70:71]
	v_add_f64 v[26:27], v[78:79], v[26:27]
	v_fma_f64 v[78:79], s[24:25], v[14:15], v[70:71]
	v_add_f64 v[32:33], v[62:63], v[32:33]
	v_mul_f64 v[62:63], v[18:19], s[48:49]
	v_add_f64 v[34:35], v[78:79], v[34:35]
	v_fma_f64 v[70:71], v[12:13], s[26:27], -v[62:63]
	v_mul_f64 v[78:79], v[16:17], s[48:49]
	v_fmac_f64_e32 v[62:63], s[26:27], v[12:13]
	v_add_f64 v[70:71], v[70:71], v[80:81]
	v_fma_f64 v[80:81], s[26:27], v[14:15], v[78:79]
	v_add_f64 v[62:63], v[62:63], v[74:75]
	v_fma_f64 v[74:75], v[14:15], s[26:27], -v[78:79]
	v_mul_f64 v[78:79], v[18:19], s[44:45]
	v_add_f64 v[74:75], v[74:75], v[82:83]
	v_fma_f64 v[82:83], v[12:13], s[14:15], -v[78:79]
	v_add_f64 v[82:83], v[82:83], v[138:139]
	v_mul_f64 v[138:139], v[16:17], s[44:45]
	v_fmac_f64_e32 v[78:79], s[14:15], v[12:13]
	v_add_f64 v[80:81], v[80:81], v[140:141]
	v_fma_f64 v[140:141], s[14:15], v[14:15], v[138:139]
	v_add_f64 v[78:79], v[78:79], v[136:137]
	v_fma_f64 v[136:137], v[14:15], s[14:15], -v[138:139]
	v_mul_f64 v[138:139], v[18:19], s[34:35]
	v_add_f64 v[136:137], v[136:137], v[142:143]
	v_fma_f64 v[142:143], v[12:13], s[18:19], -v[138:139]
	v_fmac_f64_e32 v[138:139], s[18:19], v[12:13]
	v_mul_f64 v[18:19], v[18:19], s[36:37]
	v_mul_f64 v[144:145], v[16:17], s[34:35]
	v_add_f64 v[138:139], v[138:139], v[146:147]
	v_fma_f64 v[146:147], v[12:13], s[22:23], -v[18:19]
	v_mul_f64 v[16:17], v[16:17], s[36:37]
	v_fmac_f64_e32 v[18:19], s[22:23], v[12:13]
	v_add_f64 v[8:9], v[18:19], v[8:9]
	v_fma_f64 v[12:13], v[14:15], s[22:23], -v[16:17]
	v_add_f64 v[18:19], v[54:55], -v[60:61]
	v_add_f64 v[140:141], v[140:141], v[148:149]
	v_add_f64 v[142:143], v[142:143], v[150:151]
	v_fma_f64 v[148:149], s[18:19], v[14:15], v[144:145]
	v_fma_f64 v[144:145], v[14:15], s[18:19], -v[144:145]
	v_fma_f64 v[150:151], s[22:23], v[14:15], v[16:17]
	v_add_f64 v[10:11], v[12:13], v[10:11]
	v_add_f64 v[12:13], v[64:65], v[66:67]
	;; [unrolled: 1-line block ×3, first 2 shown]
	v_mul_f64 v[54:55], v[18:19], s[30:31]
	v_add_f64 v[16:17], v[64:65], -v[66:67]
	v_fma_f64 v[60:61], v[12:13], s[26:27], -v[54:55]
	v_add_f64 v[22:23], v[60:61], v[22:23]
	v_mul_f64 v[60:61], v[16:17], s[30:31]
	v_fmac_f64_e32 v[54:55], s[26:27], v[12:13]
	v_add_f64 v[20:21], v[54:55], v[20:21]
	v_fma_f64 v[54:55], v[14:15], s[26:27], -v[60:61]
	v_add_f64 v[24:25], v[54:55], v[24:25]
	v_mul_f64 v[54:55], v[18:19], s[46:47]
	v_fma_f64 v[64:65], s[26:27], v[14:15], v[60:61]
	v_fma_f64 v[60:61], v[12:13], s[22:23], -v[54:55]
	v_add_f64 v[30:31], v[60:61], v[30:31]
	v_mul_f64 v[60:61], v[16:17], s[46:47]
	v_fmac_f64_e32 v[54:55], s[22:23], v[12:13]
	v_add_f64 v[28:29], v[54:55], v[28:29]
	v_fma_f64 v[54:55], v[14:15], s[22:23], -v[60:61]
	v_add_f64 v[26:27], v[64:65], v[26:27]
	v_fma_f64 v[64:65], s[22:23], v[14:15], v[60:61]
	v_add_f64 v[32:33], v[54:55], v[32:33]
	v_mul_f64 v[54:55], v[18:19], s[44:45]
	v_add_f64 v[34:35], v[64:65], v[34:35]
	v_fma_f64 v[60:61], v[12:13], s[14:15], -v[54:55]
	v_mul_f64 v[64:65], v[16:17], s[44:45]
	v_fmac_f64_e32 v[54:55], s[14:15], v[12:13]
	v_fma_f64 v[66:67], s[14:15], v[14:15], v[64:65]
	v_add_f64 v[54:55], v[54:55], v[62:63]
	v_fma_f64 v[62:63], v[14:15], s[14:15], -v[64:65]
	v_mul_f64 v[64:65], v[18:19], s[28:29]
	v_add_f64 v[60:61], v[60:61], v[70:71]
	v_fma_f64 v[70:71], v[12:13], s[20:21], -v[64:65]
	v_fmac_f64_e32 v[64:65], s[20:21], v[12:13]
	v_add_f64 v[62:63], v[62:63], v[74:75]
	v_mul_f64 v[74:75], v[16:17], s[28:29]
	v_add_f64 v[64:65], v[64:65], v[78:79]
	v_mul_f64 v[78:79], v[18:19], s[52:53]
	v_add_f64 v[66:67], v[66:67], v[80:81]
	v_add_f64 v[70:71], v[70:71], v[82:83]
	v_fma_f64 v[80:81], s[20:21], v[14:15], v[74:75]
	v_fma_f64 v[74:75], v[14:15], s[20:21], -v[74:75]
	v_fma_f64 v[82:83], v[12:13], s[24:25], -v[78:79]
	v_fmac_f64_e32 v[78:79], s[24:25], v[12:13]
	v_mul_f64 v[18:19], v[18:19], s[50:51]
	v_add_f64 v[74:75], v[74:75], v[136:137]
	v_mul_f64 v[136:137], v[16:17], s[52:53]
	v_add_f64 v[78:79], v[78:79], v[138:139]
	v_fma_f64 v[138:139], v[12:13], s[18:19], -v[18:19]
	v_mul_f64 v[16:17], v[16:17], s[50:51]
	v_fmac_f64_e32 v[18:19], s[18:19], v[12:13]
	v_add_f64 v[8:9], v[18:19], v[8:9]
	v_fma_f64 v[12:13], v[14:15], s[18:19], -v[16:17]
	v_add_f64 v[18:19], v[50:51], -v[200:201]
	v_add_f64 v[80:81], v[80:81], v[140:141]
	v_add_f64 v[82:83], v[82:83], v[142:143]
	v_fma_f64 v[140:141], s[24:25], v[14:15], v[136:137]
	v_fma_f64 v[136:137], v[14:15], s[24:25], -v[136:137]
	v_fma_f64 v[142:143], s[18:19], v[14:15], v[16:17]
	v_add_f64 v[10:11], v[12:13], v[10:11]
	v_add_f64 v[12:13], v[56:57], v[58:59]
	;; [unrolled: 1-line block ×3, first 2 shown]
	v_mul_f64 v[50:51], v[18:19], s[36:37]
	v_add_f64 v[16:17], v[56:57], -v[58:59]
	v_fma_f64 v[56:57], v[12:13], s[22:23], -v[50:51]
	v_add_f64 v[22:23], v[56:57], v[22:23]
	v_mul_f64 v[56:57], v[16:17], s[36:37]
	v_fmac_f64_e32 v[50:51], s[22:23], v[12:13]
	v_add_f64 v[20:21], v[50:51], v[20:21]
	v_fma_f64 v[50:51], v[14:15], s[22:23], -v[56:57]
	v_add_f64 v[24:25], v[50:51], v[24:25]
	v_mul_f64 v[50:51], v[18:19], s[42:43]
	v_fma_f64 v[58:59], s[22:23], v[14:15], v[56:57]
	v_fma_f64 v[56:57], v[12:13], s[20:21], -v[50:51]
	v_add_f64 v[30:31], v[56:57], v[30:31]
	v_mul_f64 v[56:57], v[16:17], s[42:43]
	v_fmac_f64_e32 v[50:51], s[20:21], v[12:13]
	v_add_f64 v[28:29], v[50:51], v[28:29]
	v_fma_f64 v[50:51], v[14:15], s[20:21], -v[56:57]
	v_add_f64 v[26:27], v[58:59], v[26:27]
	v_fma_f64 v[58:59], s[20:21], v[14:15], v[56:57]
	v_add_f64 v[32:33], v[50:51], v[32:33]
	v_mul_f64 v[50:51], v[18:19], s[34:35]
	v_add_f64 v[34:35], v[58:59], v[34:35]
	v_fma_f64 v[56:57], v[12:13], s[18:19], -v[50:51]
	v_mul_f64 v[58:59], v[16:17], s[34:35]
	v_fmac_f64_e32 v[50:51], s[18:19], v[12:13]
	v_add_f64 v[56:57], v[56:57], v[60:61]
	v_fma_f64 v[60:61], s[18:19], v[14:15], v[58:59]
	v_add_f64 v[50:51], v[50:51], v[54:55]
	v_fma_f64 v[54:55], v[14:15], s[18:19], -v[58:59]
	v_mul_f64 v[58:59], v[18:19], s[52:53]
	v_add_f64 v[60:61], v[60:61], v[66:67]
	v_add_f64 v[54:55], v[54:55], v[62:63]
	v_fma_f64 v[62:63], v[12:13], s[24:25], -v[58:59]
	v_mul_f64 v[66:67], v[16:17], s[52:53]
	v_fmac_f64_e32 v[58:59], s[24:25], v[12:13]
	v_add_f64 v[154:155], v[154:155], v[168:169]
	v_add_f64 v[62:63], v[62:63], v[70:71]
	v_fma_f64 v[70:71], s[24:25], v[14:15], v[66:67]
	v_add_f64 v[58:59], v[58:59], v[64:65]
	v_fma_f64 v[64:65], v[14:15], s[24:25], -v[66:67]
	v_mul_f64 v[66:67], v[18:19], s[44:45]
	v_add_f64 v[156:157], v[156:157], v[162:163]
	v_add_f64 v[158:159], v[158:159], v[170:171]
	;; [unrolled: 1-line block ×6, first 2 shown]
	v_fma_f64 v[74:75], v[12:13], s[14:15], -v[66:67]
	v_mul_f64 v[80:81], v[16:17], s[44:45]
	v_fmac_f64_e32 v[66:67], s[14:15], v[12:13]
	v_mul_f64 v[18:19], v[18:19], s[30:31]
	v_add_f64 v[148:149], v[148:149], v[156:157]
	v_add_f64 v[150:151], v[150:151], v[158:159]
	;; [unrolled: 1-line block ×5, first 2 shown]
	v_fma_f64 v[82:83], s[14:15], v[14:15], v[80:81]
	v_add_f64 v[66:67], v[66:67], v[78:79]
	v_fma_f64 v[78:79], v[14:15], s[14:15], -v[80:81]
	v_fma_f64 v[80:81], v[12:13], s[26:27], -v[18:19]
	v_mul_f64 v[16:17], v[16:17], s[30:31]
	v_fmac_f64_e32 v[18:19], s[26:27], v[12:13]
	v_add_f64 v[140:141], v[140:141], v[148:149]
	v_add_f64 v[142:143], v[142:143], v[150:151]
	;; [unrolled: 1-line block ×4, first 2 shown]
	v_fma_f64 v[136:137], s[26:27], v[14:15], v[16:17]
	v_add_f64 v[138:139], v[18:19], v[8:9]
	v_fma_f64 v[8:9], v[14:15], s[26:27], -v[16:17]
	v_add_f64 v[152:153], v[36:37], v[38:39]
	v_add_f64 v[36:37], v[36:37], -v[38:39]
	v_add_f64 v[82:83], v[82:83], v[140:141]
	v_add_f64 v[136:137], v[136:137], v[142:143]
	;; [unrolled: 1-line block ×4, first 2 shown]
	v_mul_f64 v[8:9], v[36:37], s[38:39]
	v_add_f64 v[52:53], v[160:161], -v[52:53]
	v_fma_f64 v[10:11], v[142:143], s[24:25], -v[8:9]
	v_add_f64 v[16:17], v[10:11], v[22:23]
	v_mul_f64 v[10:11], v[52:53], s[38:39]
	v_fma_f64 v[12:13], s[24:25], v[152:153], v[10:11]
	v_add_f64 v[18:19], v[12:13], v[26:27]
	v_mul_f64 v[12:13], v[36:37], s[44:45]
	v_fma_f64 v[10:11], v[152:153], s[24:25], -v[10:11]
	v_fma_f64 v[14:15], v[142:143], s[14:15], -v[12:13]
	v_fmac_f64_e32 v[8:9], s[24:25], v[142:143]
	v_add_f64 v[10:11], v[10:11], v[24:25]
	v_add_f64 v[24:25], v[14:15], v[30:31]
	v_mul_f64 v[14:15], v[52:53], s[44:45]
	v_add_f64 v[8:9], v[8:9], v[20:21]
	v_fma_f64 v[20:21], s[14:15], v[152:153], v[14:15]
	v_add_f64 v[26:27], v[20:21], v[34:35]
	v_mul_f64 v[20:21], v[36:37], s[36:37]
	v_fma_f64 v[14:15], v[152:153], s[14:15], -v[14:15]
	v_fma_f64 v[22:23], v[142:143], s[22:23], -v[20:21]
	v_fmac_f64_e32 v[12:13], s[14:15], v[142:143]
	v_add_f64 v[14:15], v[14:15], v[32:33]
	v_add_f64 v[32:33], v[22:23], v[56:57]
	v_mul_f64 v[22:23], v[52:53], s[36:37]
	v_add_f64 v[12:13], v[12:13], v[28:29]
	v_fma_f64 v[28:29], s[22:23], v[152:153], v[22:23]
	v_add_f64 v[34:35], v[28:29], v[60:61]
	v_mul_f64 v[28:29], v[36:37], s[50:51]
	v_fma_f64 v[30:31], v[142:143], s[18:19], -v[28:29]
	v_add_f64 v[144:145], v[30:31], v[62:63]
	v_mul_f64 v[30:31], v[52:53], s[50:51]
	v_fma_f64 v[38:39], s[18:19], v[152:153], v[30:31]
	v_fmac_f64_e32 v[20:21], s[22:23], v[142:143]
	v_add_f64 v[146:147], v[38:39], v[70:71]
	v_mul_f64 v[38:39], v[36:37], s[30:31]
	v_add_f64 v[20:21], v[20:21], v[50:51]
	v_fma_f64 v[50:51], v[142:143], s[26:27], -v[38:39]
	v_add_f64 v[156:157], v[50:51], v[74:75]
	v_mul_f64 v[50:51], v[52:53], s[30:31]
	v_fmac_f64_e32 v[38:39], s[26:27], v[142:143]
	v_add_f64 v[148:149], v[38:39], v[66:67]
	v_fma_f64 v[38:39], v[152:153], s[26:27], -v[50:51]
	v_mul_f64 v[36:37], v[36:37], s[42:43]
	v_mul_f64 v[166:167], v[196:197], v[106:107]
	v_add_f64 v[150:151], v[38:39], v[78:79]
	v_fma_f64 v[38:39], v[142:143], s[20:21], -v[36:37]
	v_mul_f64 v[164:165], v[192:193], v[118:119]
	v_fmac_f64_e32 v[166:167], v[198:199], v[104:105]
	v_fma_f64 v[22:23], v[152:153], s[22:23], -v[22:23]
	v_fmac_f64_e32 v[28:29], s[18:19], v[142:143]
	v_add_f64 v[160:161], v[38:39], v[80:81]
	v_mul_f64 v[38:39], v[52:53], s[42:43]
	v_fmac_f64_e32 v[36:37], s[20:21], v[142:143]
	v_add_f64 v[142:143], v[172:173], -v[188:189]
	v_fmac_f64_e32 v[164:165], v[194:195], v[116:117]
	v_add_f64 v[22:23], v[22:23], v[54:55]
	v_add_f64 v[28:29], v[28:29], v[58:59]
	v_fma_f64 v[30:31], v[152:153], s[18:19], -v[30:31]
	v_fma_f64 v[54:55], s[26:27], v[152:153], v[50:51]
	v_fma_f64 v[50:51], s[20:21], v[152:153], v[38:39]
	v_add_f64 v[56:57], v[40:41], -v[166:167]
	v_mul_f64 v[58:59], v[142:143], s[34:35]
	v_add_f64 v[30:31], v[30:31], v[64:65]
	v_add_f64 v[162:163], v[50:51], v[136:137]
	;; [unrolled: 1-line block ×3, first 2 shown]
	v_mul_f64 v[50:51], v[56:57], s[40:41]
	v_accvgpr_write_b32 a181, v59
	v_add_f64 v[64:65], v[42:43], -v[164:165]
	v_add_f64 v[236:237], v[172:173], v[188:189]
	v_mul_f64 v[52:53], v[142:143], s[40:41]
	v_accvgpr_write_b32 a163, v51
	v_accvgpr_write_b32 a180, v58
	v_fma_f64 v[58:59], v[238:239], s[18:19], -v[58:59]
	v_mul_f64 v[62:63], v[64:65], s[34:35]
	v_accvgpr_write_b32 a162, v50
	v_fma_f64 v[50:51], s[14:15], v[236:237], v[50:51]
	v_accvgpr_write_b32 a165, v53
	v_add_f64 v[60:61], v[2:3], v[58:59]
	v_add_f64 v[218:219], v[84:85], v[186:187]
	v_add_f64 v[58:59], v[84:85], -v[186:187]
	v_accvgpr_write_b32 a179, v63
	v_add_f64 v[50:51], v[0:1], v[50:51]
	v_accvgpr_write_b32 a164, v52
	v_fma_f64 v[52:53], v[238:239], s[14:15], -v[52:53]
	v_add_f64 v[222:223], v[42:43], v[164:165]
	v_mul_f64 v[66:67], v[58:59], s[34:35]
	v_accvgpr_write_b32 a178, v62
	v_fma_f64 v[62:63], s[18:19], v[218:219], v[62:63]
	v_add_f64 v[158:159], v[54:55], v[82:83]
	v_add_f64 v[52:53], v[2:3], v[52:53]
	v_mul_f64 v[54:55], v[56:57], s[34:35]
	v_add_f64 v[50:51], v[62:63], v[50:51]
	v_fma_f64 v[62:63], v[222:223], s[18:19], -v[66:67]
	v_accvgpr_write_b32 a169, v55
	v_add_f64 v[52:53], v[62:63], v[52:53]
	v_mul_f64 v[62:63], v[64:65], s[30:31]
	v_accvgpr_write_b32 a168, v54
	v_fma_f64 v[54:55], s[18:19], v[236:237], v[54:55]
	v_accvgpr_write_b32 a183, v67
	v_accvgpr_write_b32 a185, v63
	v_fmac_f64_e32 v[134:135], v[190:191], v[120:121]
	v_add_f64 v[54:55], v[0:1], v[54:55]
	v_accvgpr_write_b32 a182, v66
	v_mul_f64 v[66:67], v[58:59], s[30:31]
	v_accvgpr_write_b32 a184, v62
	v_fma_f64 v[62:63], s[26:27], v[218:219], v[62:63]
	v_add_f64 v[54:55], v[62:63], v[54:55]
	v_fma_f64 v[62:63], v[222:223], s[26:27], -v[66:67]
	v_add_f64 v[254:255], v[44:45], -v[134:135]
	v_add_f64 v[60:61], v[62:63], v[60:61]
	v_mul_f64 v[62:63], v[254:255], s[28:29]
	v_accvgpr_write_b32 a189, v67
	v_add_f64 v[214:215], v[86:87], v[184:185]
	v_add_f64 v[70:71], v[86:87], -v[184:185]
	v_accvgpr_write_b32 a187, v63
	v_accvgpr_write_b32 a188, v66
	v_add_f64 v[216:217], v[44:45], v[134:135]
	v_mul_f64 v[66:67], v[70:71], s[28:29]
	v_accvgpr_write_b32 a186, v62
	v_fma_f64 v[62:63], s[20:21], v[214:215], v[62:63]
	v_add_f64 v[50:51], v[62:63], v[50:51]
	v_fma_f64 v[62:63], v[216:217], s[20:21], -v[66:67]
	v_add_f64 v[52:53], v[62:63], v[52:53]
	v_mul_f64 v[62:63], v[254:255], s[38:39]
	v_accvgpr_write_b32 a191, v67
	v_accvgpr_write_b32 a193, v63
	;; [unrolled: 1-line block ×4, first 2 shown]
	v_mul_f64 v[66:67], v[70:71], s[38:39]
	v_accvgpr_write_b32 a192, v62
	v_fma_f64 v[62:63], s[24:25], v[214:215], v[62:63]
	v_accvgpr_write_b32 a152, v178
	v_accvgpr_write_b32 a137, v173
	v_add_f64 v[54:55], v[62:63], v[54:55]
	v_fma_f64 v[62:63], v[216:217], s[24:25], -v[66:67]
	v_add_f64 v[224:225], v[88:89], v[178:179]
	v_accvgpr_write_b32 a153, v179
	v_add_f64 v[172:173], v[88:89], -v[178:179]
	v_add_f64 v[178:179], v[46:47], -v[132:133]
	v_add_f64 v[60:61], v[62:63], v[60:61]
	v_mul_f64 v[62:63], v[178:179], s[30:31]
	v_accvgpr_write_b32 a90, v226
	v_accvgpr_write_b32 a197, v67
	;; [unrolled: 1-line block ×7, first 2 shown]
	v_add_f64 v[226:227], v[46:47], v[132:133]
	v_mul_f64 v[66:67], v[172:173], s[30:31]
	v_accvgpr_write_b32 a194, v62
	v_fma_f64 v[62:63], s[26:27], v[224:225], v[62:63]
	v_accvgpr_write_b32 a150, v182
	v_add_f64 v[50:51], v[62:63], v[50:51]
	v_fma_f64 v[62:63], v[226:227], s[26:27], -v[66:67]
	v_add_f64 v[228:229], v[90:91], v[182:183]
	v_accvgpr_write_b32 a151, v183
	v_add_f64 v[180:181], v[90:91], -v[182:183]
	v_add_f64 v[182:183], v[48:49], -v[76:77]
	v_add_f64 v[52:53], v[62:63], v[52:53]
	v_mul_f64 v[62:63], v[182:183], s[36:37]
	v_accvgpr_write_b32 a199, v67
	v_accvgpr_write_b32 a201, v63
	;; [unrolled: 1-line block ×3, first 2 shown]
	v_add_f64 v[230:231], v[48:49], v[76:77]
	v_mul_f64 v[66:67], v[180:181], s[36:37]
	v_accvgpr_write_b32 a200, v62
	v_fma_f64 v[62:63], s[22:23], v[228:229], v[62:63]
	v_add_f64 v[50:51], v[62:63], v[50:51]
	v_fma_f64 v[62:63], v[230:231], s[22:23], -v[66:67]
	v_add_f64 v[192:193], v[68:69], -v[72:73]
	v_accvgpr_write_b32 a160, v188
	v_add_f64 v[52:53], v[62:63], v[52:53]
	v_mul_f64 v[62:63], v[192:193], s[38:39]
	v_accvgpr_write_b32 a161, v189
	v_accvgpr_write_b32 a203, v67
	v_add_f64 v[240:241], v[174:175], v[202:203]
	v_add_f64 v[188:189], v[174:175], -v[202:203]
	v_accvgpr_write_b32 a205, v63
	v_accvgpr_write_b32 a202, v66
	v_add_f64 v[242:243], v[68:69], v[72:73]
	v_mul_f64 v[66:67], v[188:189], s[38:39]
	v_accvgpr_write_b32 a204, v62
	v_fma_f64 v[62:63], s[24:25], v[240:241], v[62:63]
	v_add_f64 v[78:79], v[62:63], v[50:51]
	v_fma_f64 v[50:51], v[242:243], s[24:25], -v[66:67]
	v_add_f64 v[80:81], v[50:51], v[52:53]
	v_mul_f64 v[50:51], v[178:179], s[46:47]
	v_accvgpr_write_b32 a209, v51
	v_accvgpr_write_b32 a208, v50
	v_fma_f64 v[50:51], s[22:23], v[224:225], v[50:51]
	v_add_f64 v[50:51], v[50:51], v[54:55]
	v_mul_f64 v[54:55], v[182:183], s[42:43]
	v_mul_f64 v[82:83], v[172:173], s[46:47]
	v_accvgpr_write_b32 a211, v55
	v_add_f64 v[6:7], v[6:7], v[212:213]
	v_fma_f64 v[52:53], v[226:227], s[22:23], -v[82:83]
	v_accvgpr_write_b32 a210, v54
	v_fma_f64 v[54:55], s[20:21], v[228:229], v[54:55]
	v_mul_f64 v[212:213], v[180:181], s[42:43]
	v_add_f64 v[52:53], v[52:53], v[60:61]
	v_add_f64 v[50:51], v[54:55], v[50:51]
	v_fma_f64 v[54:55], v[230:231], s[20:21], -v[212:213]
	v_add_f64 v[52:53], v[54:55], v[52:53]
	v_mul_f64 v[54:55], v[192:193], s[44:45]
	v_accvgpr_write_b32 a213, v55
	v_accvgpr_write_b32 a212, v54
	v_fma_f64 v[54:55], s[14:15], v[240:241], v[54:55]
	v_mul_f64 v[220:221], v[188:189], s[44:45]
	v_add_f64 v[60:61], v[54:55], v[50:51]
	v_fma_f64 v[50:51], v[242:243], s[14:15], -v[220:221]
	v_mul_f64 v[232:233], v[56:57], s[28:29]
	v_add_f64 v[62:63], v[50:51], v[52:53]
	v_fma_f64 v[50:51], s[20:21], v[236:237], v[232:233]
	v_mul_f64 v[234:235], v[64:65], s[38:39]
	v_add_f64 v[50:51], v[0:1], v[50:51]
	v_fma_f64 v[52:53], s[24:25], v[218:219], v[234:235]
	v_mul_f64 v[246:247], v[142:143], s[28:29]
	v_add_f64 v[50:51], v[52:53], v[50:51]
	v_fma_f64 v[52:53], v[238:239], s[20:21], -v[246:247]
	v_mul_f64 v[250:251], v[58:59], s[38:39]
	v_add_f64 v[52:53], v[2:3], v[52:53]
	v_fma_f64 v[54:55], v[222:223], s[24:25], -v[250:251]
	v_mul_f64 v[244:245], v[254:255], s[48:49]
	v_add_f64 v[36:37], v[36:37], v[138:139]
	v_add_f64 v[52:53], v[54:55], v[52:53]
	v_fma_f64 v[54:55], s[26:27], v[214:215], v[244:245]
	v_mul_f64 v[138:139], v[70:71], s[48:49]
	v_add_f64 v[50:51], v[54:55], v[50:51]
	v_fma_f64 v[54:55], v[216:217], s[26:27], -v[138:139]
	v_mul_f64 v[248:249], v[178:179], s[44:45]
	v_fma_f64 v[38:39], v[152:153], s[20:21], -v[38:39]
	v_add_f64 v[52:53], v[54:55], v[52:53]
	v_fma_f64 v[54:55], s[14:15], v[224:225], v[248:249]
	v_mul_f64 v[152:153], v[172:173], s[44:45]
	v_add_f64 v[50:51], v[54:55], v[50:51]
	v_fma_f64 v[54:55], v[226:227], s[14:15], -v[152:153]
	v_mul_f64 v[136:137], v[182:183], s[34:35]
	v_add_f64 v[52:53], v[54:55], v[52:53]
	v_fma_f64 v[54:55], s[18:19], v[228:229], v[136:137]
	v_mul_f64 v[154:155], v[180:181], s[34:35]
	v_add_f64 v[38:39], v[38:39], v[140:141]
	v_add_f64 v[50:51], v[54:55], v[50:51]
	v_fma_f64 v[54:55], v[230:231], s[18:19], -v[154:155]
	v_mul_f64 v[140:141], v[192:193], s[36:37]
	v_accvgpr_write_b32 a125, v63
	v_add_f64 v[52:53], v[54:55], v[52:53]
	v_fma_f64 v[54:55], s[22:23], v[240:241], v[140:141]
	v_accvgpr_write_b32 a124, v62
	v_accvgpr_write_b32 a123, v61
	;; [unrolled: 1-line block ×3, first 2 shown]
	v_add_f64 v[60:61], v[54:55], v[50:51]
	v_mul_f64 v[50:51], v[188:189], s[36:37]
	v_fma_f64 v[54:55], v[242:243], s[22:23], -v[50:51]
	v_add_f64 v[62:63], v[54:55], v[52:53]
	v_mul_f64 v[52:53], v[56:57], s[30:31]
	v_accvgpr_write_b32 a129, v63
	v_fma_f64 v[54:55], s[26:27], v[236:237], v[52:53]
	v_accvgpr_write_b32 a121, v81
	v_accvgpr_write_b32 a128, v62
	v_accvgpr_write_b32 a127, v61
	v_accvgpr_write_b32 a126, v60
	v_add_f64 v[60:61], v[0:1], v[54:55]
	v_mul_f64 v[54:55], v[64:65], s[46:47]
	v_accvgpr_write_b32 a120, v80
	v_accvgpr_write_b32 a119, v79
	;; [unrolled: 1-line block ×3, first 2 shown]
	v_fma_f64 v[62:63], s[22:23], v[218:219], v[54:55]
	v_mul_f64 v[78:79], v[142:143], s[30:31]
	v_accvgpr_write_b32 a207, v67
	v_add_f64 v[62:63], v[62:63], v[60:61]
	v_fma_f64 v[60:61], v[238:239], s[26:27], -v[78:79]
	v_mul_f64 v[252:253], v[58:59], s[46:47]
	v_accvgpr_write_b32 a206, v66
	v_add_f64 v[60:61], v[2:3], v[60:61]
	v_fma_f64 v[66:67], v[222:223], s[22:23], -v[252:253]
	v_add_f64 v[66:67], v[66:67], v[60:61]
	v_mul_f64 v[60:61], v[254:255], s[44:45]
	v_fma_f64 v[74:75], s[14:15], v[214:215], v[60:61]
	v_mul_f64 v[168:169], v[70:71], s[44:45]
	v_add_f64 v[74:75], v[74:75], v[62:63]
	v_fma_f64 v[62:63], v[216:217], s[14:15], -v[168:169]
	v_add_f64 v[66:67], v[62:63], v[66:67]
	v_mul_f64 v[62:63], v[178:179], s[28:29]
	v_fma_f64 v[80:81], s[20:21], v[224:225], v[62:63]
	v_mul_f64 v[170:171], v[172:173], s[28:29]
	v_add_f64 v[74:75], v[80:81], v[74:75]
	v_fma_f64 v[80:81], v[226:227], s[20:21], -v[170:171]
	v_accvgpr_write_b32 a146, v174
	v_add_f64 v[80:81], v[80:81], v[66:67]
	v_mul_f64 v[66:67], v[182:183], s[52:53]
	v_accvgpr_write_b32 a147, v175
	v_fma_f64 v[174:175], s[24:25], v[228:229], v[66:67]
	v_add_f64 v[176:177], v[174:175], v[74:75]
	v_mul_f64 v[174:175], v[180:181], s[52:53]
	v_fma_f64 v[74:75], v[230:231], s[24:25], -v[174:175]
	v_accvgpr_write_b32 a154, v184
	v_add_f64 v[80:81], v[74:75], v[80:81]
	v_mul_f64 v[74:75], v[192:193], s[50:51]
	v_accvgpr_write_b32 a139, v85
	v_accvgpr_write_b32 a155, v185
	v_fma_f64 v[184:185], s[18:19], v[240:241], v[74:75]
	v_accvgpr_write_b32 a138, v84
	v_add_f64 v[84:85], v[184:185], v[176:177]
	v_mul_f64 v[176:177], v[188:189], s[50:51]
	v_accvgpr_write_b32 a141, v87
	v_fma_f64 v[184:185], v[242:243], s[18:19], -v[176:177]
	v_accvgpr_write_b32 a156, v186
	v_accvgpr_write_b32 a140, v86
	v_add_f64 v[86:87], v[184:185], v[80:81]
	v_mul_f64 v[184:185], v[56:57], s[36:37]
	v_accvgpr_write_b32 a157, v187
	v_fma_f64 v[80:81], s[22:23], v[236:237], v[184:185]
	v_mul_f64 v[186:187], v[64:65], s[42:43]
	v_accvgpr_write_b32 a148, v202
	v_add_f64 v[80:81], v[0:1], v[80:81]
	v_fma_f64 v[190:191], s[20:21], v[218:219], v[186:187]
	v_mul_f64 v[200:201], v[142:143], s[36:37]
	v_accvgpr_write_b32 a149, v203
	v_add_f64 v[80:81], v[190:191], v[80:81]
	v_fma_f64 v[190:191], v[238:239], s[22:23], -v[200:201]
	v_mul_f64 v[202:203], v[58:59], s[42:43]
	v_add_f64 v[190:191], v[2:3], v[190:191]
	v_fma_f64 v[194:195], v[222:223], s[20:21], -v[202:203]
	v_add_f64 v[194:195], v[194:195], v[190:191]
	v_mul_f64 v[190:191], v[254:255], s[34:35]
	v_fma_f64 v[196:197], s[18:19], v[214:215], v[190:191]
	v_mul_f64 v[204:205], v[70:71], s[34:35]
	v_add_f64 v[80:81], v[196:197], v[80:81]
	v_fma_f64 v[196:197], v[216:217], s[18:19], -v[204:205]
	v_add_f64 v[196:197], v[196:197], v[194:195]
	v_mul_f64 v[194:195], v[178:179], s[52:53]
	v_fma_f64 v[198:199], s[24:25], v[224:225], v[194:195]
	;; [unrolled: 6-line block ×3, first 2 shown]
	v_accvgpr_write_b32 a133, v87
	v_add_f64 v[80:81], v[208:209], v[80:81]
	v_mul_f64 v[208:209], v[180:181], s[44:45]
	v_accvgpr_write_b32 a132, v86
	v_accvgpr_write_b32 a131, v85
	;; [unrolled: 1-line block ×3, first 2 shown]
	v_fma_f64 v[84:85], v[230:231], s[14:15], -v[208:209]
	v_add_f64 v[84:85], v[84:85], v[198:199]
	v_mul_f64 v[198:199], v[192:193], s[30:31]
	v_accvgpr_write_b32 a143, v89
	v_fma_f64 v[86:87], s[26:27], v[240:241], v[198:199]
	v_accvgpr_write_b32 a142, v88
	v_add_f64 v[88:89], v[86:87], v[80:81]
	v_mul_f64 v[80:81], v[188:189], s[30:31]
	v_accvgpr_write_b32 a145, v91
	v_fma_f64 v[86:87], v[242:243], s[26:27], -v[80:81]
	v_accvgpr_write_b32 a144, v90
	v_add_f64 v[90:91], v[86:87], v[84:85]
	v_accvgpr_read_b32 v84, a2
	v_lshrrev_b32_e32 v84, 2, v84
	v_mul_u32_u24_e32 v84, 52, v84
	v_or_b32_e32 v84, v84, v211
	v_lshlrev_b32_e32 v211, 4, v84
	ds_write_b128 v211, v[4:7]
	ds_write_b128 v211, v[16:19] offset:64
	ds_write_b128 v211, v[24:27] offset:128
	;; [unrolled: 1-line block ×12, first 2 shown]
	v_accvgpr_read_b32 v4, a116
	v_accvgpr_write_b32 a173, v91
	v_lshrrev_b32_e32 v4, 2, v4
	v_accvgpr_write_b32 a172, v90
	v_accvgpr_write_b32 a171, v89
	;; [unrolled: 1-line block ×4, first 2 shown]
	s_and_saveexec_b64 s[54:55], s[2:3]
	s_cbranch_execz .LBB0_15
; %bb.14:
	v_mul_f64 v[18:19], v[238:239], s[24:25]
	v_mul_f64 v[10:11], v[222:223], s[14:15]
	v_fma_f64 v[6:7], s[52:53], v[142:143], v[18:19]
	v_mul_f64 v[8:9], v[216:217], s[22:23]
	v_fma_f64 v[4:5], s[40:41], v[58:59], v[10:11]
	v_add_f64 v[6:7], v[2:3], v[6:7]
	v_add_f64 v[4:5], v[4:5], v[6:7]
	v_fma_f64 v[6:7], s[46:47], v[70:71], v[8:9]
	v_mul_f64 v[22:23], v[226:227], s[18:19]
	v_add_f64 v[4:5], v[6:7], v[4:5]
	v_fma_f64 v[6:7], s[34:35], v[172:173], v[22:23]
	v_mul_f64 v[24:25], v[230:231], s[26:27]
	;; [unrolled: 3-line block ×3, first 2 shown]
	v_fmac_f64_e32 v[18:19], s[38:39], v[142:143]
	v_add_f64 v[4:5], v[6:7], v[4:5]
	v_mul_f64 v[26:27], v[64:65], s[44:45]
	v_fma_f64 v[6:7], s[24:25], v[236:237], v[28:29]
	v_fmac_f64_e32 v[10:11], s[44:45], v[58:59]
	v_add_f64 v[18:19], v[2:3], v[18:19]
	v_add_f64 v[6:7], v[0:1], v[6:7]
	v_fma_f64 v[12:13], s[14:15], v[218:219], v[26:27]
	v_mul_f64 v[30:31], v[254:255], s[36:37]
	v_fmac_f64_e32 v[8:9], s[36:37], v[70:71]
	v_add_f64 v[10:11], v[10:11], v[18:19]
	v_fma_f64 v[18:19], v[236:237], s[24:25], -v[28:29]
	v_add_f64 v[6:7], v[12:13], v[6:7]
	v_fma_f64 v[12:13], s[22:23], v[214:215], v[30:31]
	v_mul_f64 v[32:33], v[178:179], s[50:51]
	v_add_f64 v[8:9], v[8:9], v[10:11]
	v_fma_f64 v[10:11], v[218:219], s[14:15], -v[26:27]
	v_add_f64 v[18:19], v[0:1], v[18:19]
	v_add_f64 v[6:7], v[12:13], v[6:7]
	v_fma_f64 v[12:13], s[18:19], v[224:225], v[32:33]
	v_mul_f64 v[34:35], v[182:183], s[30:31]
	v_fmac_f64_e32 v[22:23], s[50:51], v[172:173]
	v_add_f64 v[10:11], v[10:11], v[18:19]
	v_fma_f64 v[18:19], v[214:215], s[22:23], -v[30:31]
	v_add_f64 v[6:7], v[12:13], v[6:7]
	v_fma_f64 v[12:13], s[26:27], v[228:229], v[34:35]
	v_mul_f64 v[36:37], v[242:243], s[20:21]
	v_fmac_f64_e32 v[24:25], s[30:31], v[180:181]
	v_add_f64 v[8:9], v[22:23], v[8:9]
	v_add_f64 v[10:11], v[18:19], v[10:11]
	v_fma_f64 v[28:29], v[224:225], s[18:19], -v[32:33]
	v_add_f64 v[12:13], v[12:13], v[6:7]
	v_fma_f64 v[6:7], s[28:29], v[188:189], v[36:37]
	v_mul_f64 v[38:39], v[192:193], s[42:43]
	v_fmac_f64_e32 v[36:37], s[42:43], v[188:189]
	v_add_f64 v[8:9], v[24:25], v[8:9]
	v_add_f64 v[10:11], v[28:29], v[10:11]
	v_fma_f64 v[28:29], v[228:229], s[26:27], -v[34:35]
	v_add_f64 v[28:29], v[28:29], v[10:11]
	v_add_f64 v[10:11], v[36:37], v[8:9]
	v_fma_f64 v[8:9], v[240:241], s[20:21], -v[38:39]
	v_mul_f64 v[24:25], v[238:239], s[22:23]
	v_add_f64 v[8:9], v[8:9], v[28:29]
	v_mul_f64 v[28:29], v[242:243], s[26:27]
	v_mul_f64 v[22:23], v[236:237], s[22:23]
	v_add_f64 v[28:29], v[80:81], v[28:29]
	v_mul_f64 v[80:81], v[222:223], s[20:21]
	v_add_f64 v[24:25], v[200:201], v[24:25]
	v_add_f64 v[6:7], v[6:7], v[4:5]
	v_fma_f64 v[4:5], s[20:21], v[240:241], v[38:39]
	v_mul_f64 v[38:39], v[216:217], s[18:19]
	v_add_f64 v[80:81], v[202:203], v[80:81]
	v_add_f64 v[24:25], v[2:3], v[24:25]
	v_mul_f64 v[144:145], v[218:219], s[20:21]
	v_add_f64 v[22:23], v[22:23], -v[184:185]
	v_mul_f64 v[32:33], v[226:227], s[24:25]
	v_add_f64 v[38:39], v[204:205], v[38:39]
	v_add_f64 v[24:25], v[80:81], v[24:25]
	v_mul_f64 v[150:151], v[214:215], s[18:19]
	v_add_f64 v[144:145], v[144:145], -v[186:187]
	v_add_f64 v[22:23], v[0:1], v[22:23]
	v_mul_f64 v[26:27], v[238:239], s[26:27]
	v_mul_f64 v[30:31], v[230:231], s[14:15]
	v_add_f64 v[32:33], v[206:207], v[32:33]
	v_add_f64 v[24:25], v[38:39], v[24:25]
	v_mul_f64 v[148:149], v[224:225], s[24:25]
	v_add_f64 v[150:151], v[150:151], -v[190:191]
	v_add_f64 v[22:23], v[144:145], v[22:23]
	v_mul_f64 v[64:65], v[236:237], s[26:27]
	v_add_f64 v[30:31], v[208:209], v[30:31]
	v_mul_f64 v[142:143], v[222:223], s[22:23]
	;; [unrolled: 2-line block ×3, first 2 shown]
	v_add_f64 v[148:149], v[148:149], -v[194:195]
	v_add_f64 v[22:23], v[150:151], v[22:23]
	v_add_f64 v[26:27], v[78:79], v[26:27]
	v_mul_f64 v[58:59], v[238:239], s[20:21]
	v_mul_f64 v[80:81], v[218:219], s[22:23]
	v_add_f64 v[24:25], v[30:31], v[24:25]
	v_mul_f64 v[30:31], v[240:241], s[26:27]
	v_add_f64 v[32:33], v[32:33], -v[196:197]
	v_mul_f64 v[172:173], v[216:217], s[14:15]
	v_add_f64 v[22:23], v[148:149], v[22:23]
	v_add_f64 v[142:143], v[252:253], v[142:143]
	;; [unrolled: 1-line block ×3, first 2 shown]
	v_add_f64 v[52:53], v[64:65], -v[52:53]
	v_mul_f64 v[56:57], v[236:237], s[20:21]
	v_mul_f64 v[86:87], v[222:223], s[24:25]
	v_add_f64 v[30:31], v[30:31], -v[198:199]
	v_add_f64 v[22:23], v[32:33], v[22:23]
	v_mul_f64 v[32:33], v[226:227], s[20:21]
	v_add_f64 v[168:169], v[168:169], v[172:173]
	v_add_f64 v[26:27], v[142:143], v[26:27]
	v_add_f64 v[54:55], v[80:81], -v[54:55]
	v_add_f64 v[52:53], v[0:1], v[52:53]
	v_add_f64 v[58:59], v[246:247], v[58:59]
	v_mul_f64 v[84:85], v[218:219], s[24:25]
	v_add_f64 v[22:23], v[30:31], v[22:23]
	v_mul_f64 v[30:31], v[230:231], s[24:25]
	v_add_f64 v[32:33], v[170:171], v[32:33]
	v_add_f64 v[26:27], v[168:169], v[26:27]
	;; [unrolled: 1-line block ×5, first 2 shown]
	v_add_f64 v[56:57], v[56:57], -v[232:233]
	v_add_f64 v[24:25], v[28:29], v[24:25]
	v_mul_f64 v[28:29], v[242:243], s[18:19]
	v_add_f64 v[30:31], v[174:175], v[30:31]
	v_add_f64 v[26:27], v[32:33], v[26:27]
	;; [unrolled: 1-line block ×3, first 2 shown]
	v_add_f64 v[58:59], v[84:85], -v[234:235]
	v_add_f64 v[56:57], v[0:1], v[56:57]
	v_mul_f64 v[162:163], v[214:215], s[14:15]
	v_add_f64 v[28:29], v[176:177], v[28:29]
	v_add_f64 v[26:27], v[30:31], v[26:27]
	;; [unrolled: 1-line block ×3, first 2 shown]
	v_accvgpr_read_b32 v58, a188
	v_mul_f64 v[36:37], v[222:223], s[26:27]
	v_mul_f64 v[144:145], v[216:217], s[26:27]
	v_add_f64 v[28:29], v[28:29], v[26:27]
	v_add_f64 v[26:27], v[162:163], -v[60:61]
	v_accvgpr_read_b32 v59, a189
	v_mul_f64 v[160:161], v[214:215], s[26:27]
	v_add_f64 v[26:27], v[26:27], v[52:53]
	v_add_f64 v[52:53], v[138:139], v[144:145]
	;; [unrolled: 1-line block ×3, first 2 shown]
	v_accvgpr_read_b32 v58, a180
	v_mul_f64 v[20:21], v[238:239], s[18:19]
	v_add_f64 v[52:53], v[52:53], v[54:55]
	v_add_f64 v[54:55], v[160:161], -v[244:245]
	v_accvgpr_read_b32 v59, a181
	v_mul_f64 v[176:177], v[224:225], s[20:21]
	v_add_f64 v[54:55], v[54:55], v[56:57]
	v_accvgpr_read_b32 v56, a196
	v_add_f64 v[20:21], v[58:59], v[20:21]
	v_mul_f64 v[158:159], v[216:217], s[24:25]
	v_mul_f64 v[186:187], v[228:229], s[24:25]
	v_add_f64 v[62:63], v[176:177], -v[62:63]
	v_accvgpr_read_b32 v57, a197
	v_add_f64 v[20:21], v[2:3], v[20:21]
	v_mul_f64 v[30:31], v[240:241], s[18:19]
	v_add_f64 v[32:33], v[186:187], -v[66:67]
	v_add_f64 v[26:27], v[62:63], v[26:27]
	v_add_f64 v[56:57], v[56:57], v[158:159]
	;; [unrolled: 1-line block ×3, first 2 shown]
	v_mul_f64 v[174:175], v[226:227], s[14:15]
	v_add_f64 v[30:31], v[30:31], -v[74:75]
	v_mul_f64 v[190:191], v[242:243], s[22:23]
	v_add_f64 v[26:27], v[32:33], v[26:27]
	v_add_f64 v[20:21], v[56:57], v[20:21]
	v_accvgpr_read_b32 v56, a184
	v_mul_f64 v[34:35], v[218:219], s[26:27]
	v_mul_f64 v[170:171], v[224:225], s[14:15]
	;; [unrolled: 1-line block ×3, first 2 shown]
	v_add_f64 v[26:27], v[30:31], v[26:27]
	v_add_f64 v[30:31], v[50:51], v[190:191]
	;; [unrolled: 1-line block ×3, first 2 shown]
	v_accvgpr_read_b32 v57, a185
	v_mul_f64 v[180:181], v[226:227], s[22:23]
	v_mul_f64 v[168:169], v[228:229], s[18:19]
	v_add_f64 v[32:33], v[154:155], v[184:185]
	v_add_f64 v[50:51], v[50:51], v[52:53]
	v_add_f64 v[52:53], v[170:171], -v[248:249]
	v_add_f64 v[34:35], v[34:35], -v[56:57]
	v_accvgpr_read_b32 v56, a168
	v_mul_f64 v[16:17], v[236:237], s[18:19]
	v_mul_f64 v[142:143], v[230:231], s[20:21]
	v_add_f64 v[32:33], v[32:33], v[50:51]
	v_add_f64 v[50:51], v[168:169], -v[136:137]
	v_add_f64 v[52:53], v[52:53], v[54:55]
	v_add_f64 v[54:55], v[82:83], v[180:181]
	v_accvgpr_read_b32 v57, a169
	v_add_f64 v[50:51], v[50:51], v[52:53]
	v_add_f64 v[52:53], v[212:213], v[142:143]
	;; [unrolled: 1-line block ×3, first 2 shown]
	v_accvgpr_read_b32 v54, a192
	v_add_f64 v[16:17], v[16:17], -v[56:57]
	v_mul_f64 v[156:157], v[214:215], s[24:25]
	v_add_f64 v[20:21], v[52:53], v[20:21]
	v_accvgpr_read_b32 v52, a208
	v_accvgpr_read_b32 v55, a193
	v_add_f64 v[16:17], v[0:1], v[16:17]
	v_mul_f64 v[178:179], v[224:225], s[22:23]
	v_accvgpr_read_b32 v53, a209
	v_add_f64 v[54:55], v[156:157], -v[54:55]
	v_add_f64 v[16:17], v[34:35], v[16:17]
	v_accvgpr_read_b32 v56, a164
	v_mul_f64 v[14:15], v[238:239], s[14:15]
	v_add_f64 v[52:53], v[178:179], -v[52:53]
	v_add_f64 v[16:17], v[54:55], v[16:17]
	v_accvgpr_read_b32 v54, a182
	v_accvgpr_read_b32 v57, a165
	v_mul_f64 v[70:71], v[222:223], s[18:19]
	v_add_f64 v[16:17], v[52:53], v[16:17]
	v_accvgpr_read_b32 v52, a190
	v_accvgpr_read_b32 v55, a183
	v_add_f64 v[14:15], v[56:57], v[14:15]
	v_mul_f64 v[146:147], v[216:217], s[20:21]
	v_mul_f64 v[186:187], v[240:241], s[22:23]
	v_accvgpr_read_b32 v53, a191
	v_add_f64 v[54:55], v[54:55], v[70:71]
	v_add_f64 v[14:15], v[2:3], v[14:15]
	v_mul_f64 v[176:177], v[242:243], s[14:15]
	v_add_f64 v[32:33], v[30:31], v[32:33]
	v_add_f64 v[30:31], v[186:187], -v[140:141]
	v_add_f64 v[52:53], v[52:53], v[146:147]
	v_add_f64 v[14:15], v[54:55], v[14:15]
	;; [unrolled: 1-line block ×5, first 2 shown]
	v_accvgpr_read_b32 v52, a186
	v_mul_f64 v[38:39], v[214:215], s[20:21]
	v_add_f64 v[36:37], v[50:51], v[20:21]
	v_accvgpr_read_b32 v50, a210
	v_accvgpr_read_b32 v53, a187
	v_mul_f64 v[78:79], v[228:229], s[20:21]
	v_accvgpr_read_b32 v20, a212
	v_accvgpr_read_b32 v51, a211
	v_add_f64 v[38:39], v[38:39], -v[52:53]
	v_accvgpr_read_b32 v52, a178
	v_mul_f64 v[18:19], v[218:219], s[18:19]
	v_mul_f64 v[66:67], v[240:241], s[14:15]
	v_accvgpr_read_b32 v21, a213
	v_add_f64 v[50:51], v[78:79], -v[50:51]
	v_accvgpr_read_b32 v53, a179
	v_add_f64 v[20:21], v[66:67], -v[20:21]
	v_add_f64 v[16:17], v[50:51], v[16:17]
	v_accvgpr_read_b32 v50, a198
	v_add_f64 v[18:19], v[18:19], -v[52:53]
	v_accvgpr_read_b32 v52, a162
	v_add_f64 v[4:5], v[4:5], v[12:13]
	v_mul_f64 v[12:13], v[236:237], s[14:15]
	v_mul_f64 v[148:149], v[226:227], s[26:27]
	v_add_f64 v[34:35], v[20:21], v[16:17]
	v_accvgpr_read_b32 v20, a202
	v_accvgpr_read_b32 v51, a199
	;; [unrolled: 1-line block ×3, first 2 shown]
	v_mul_f64 v[182:183], v[230:231], s[22:23]
	v_accvgpr_read_b32 v16, a206
	v_accvgpr_read_b32 v21, a203
	v_add_f64 v[50:51], v[50:51], v[148:149]
	v_add_f64 v[12:13], v[12:13], -v[52:53]
	v_mul_f64 v[74:75], v[242:243], s[24:25]
	v_accvgpr_read_b32 v17, a207
	v_add_f64 v[20:21], v[20:21], v[182:183]
	v_add_f64 v[14:15], v[50:51], v[14:15]
	v_accvgpr_read_b32 v50, a194
	v_add_f64 v[12:13], v[0:1], v[12:13]
	v_mul_f64 v[150:151], v[224:225], s[26:27]
	v_add_f64 v[16:17], v[16:17], v[74:75]
	v_add_f64 v[14:15], v[20:21], v[14:15]
	v_accvgpr_read_b32 v20, a200
	v_accvgpr_read_b32 v51, a195
	v_add_f64 v[12:13], v[18:19], v[12:13]
	v_mul_f64 v[172:173], v[228:229], s[22:23]
	v_add_f64 v[14:15], v[16:17], v[14:15]
	v_accvgpr_read_b32 v16, a204
	v_accvgpr_read_b32 v21, a201
	v_add_f64 v[50:51], v[150:151], -v[50:51]
	v_add_f64 v[12:13], v[38:39], v[12:13]
	v_mul_f64 v[188:189], v[240:241], s[24:25]
	v_accvgpr_read_b32 v17, a205
	v_add_f64 v[20:21], v[172:173], -v[20:21]
	v_add_f64 v[12:13], v[50:51], v[12:13]
	v_add_f64 v[16:17], v[188:189], -v[16:17]
	v_add_f64 v[12:13], v[20:21], v[12:13]
	v_add_f64 v[12:13], v[16:17], v[12:13]
	v_accvgpr_read_b32 v16, a136
	v_accvgpr_read_b32 v17, a137
	v_add_f64 v[0:1], v[0:1], v[16:17]
	v_accvgpr_read_b32 v16, a138
	v_accvgpr_read_b32 v17, a139
	;; [unrolled: 3-line block ×8, first 2 shown]
	v_add_f64 v[2:3], v[2:3], v[40:41]
	v_add_f64 v[0:1], v[0:1], v[16:17]
	v_accvgpr_read_b32 v16, a152
	v_add_f64 v[2:3], v[2:3], v[42:43]
	v_accvgpr_read_b32 v17, a153
	v_add_f64 v[2:3], v[2:3], v[44:45]
	v_add_f64 v[0:1], v[0:1], v[16:17]
	v_accvgpr_read_b32 v16, a154
	v_add_f64 v[2:3], v[2:3], v[46:47]
	v_accvgpr_read_b32 v17, a155
	;; [unrolled: 5-line block ×4, first 2 shown]
	v_add_f64 v[2:3], v[2:3], v[132:133]
	v_add_f64 v[0:1], v[0:1], v[16:17]
	v_accvgpr_read_b32 v16, a116
	v_add_f64 v[2:3], v[2:3], v[134:135]
	v_mul_u32_u24_e32 v16, 52, v16
	v_accvgpr_read_b32 v17, a3
	v_add_f64 v[2:3], v[2:3], v[164:165]
	v_or_b32_e32 v16, v16, v17
	v_add_f64 v[2:3], v[2:3], v[166:167]
	v_lshlrev_b32_e32 v16, 4, v16
	ds_write_b128 v16, v[0:3]
	ds_write_b128 v16, v[12:15] offset:64
	ds_write_b128 v16, v[34:37] offset:128
	;; [unrolled: 1-line block ×12, first 2 shown]
.LBB0_15:
	s_or_b64 exec, exec, s[54:55]
	v_mov_b32_e32 v0, s17
	v_addc_co_u32_e64 v80, vcc, 0, v0, s[6:7]
	s_movk_i32 s6, 0x60
	v_pk_mov_b32 v[82:83], s[4:5], s[4:5] op_sel:[0,1]
	v_accvgpr_read_b32 v81, a2
	v_mad_u64_u32 v[84:85], s[14:15], v81, s6, v[82:83]
	s_waitcnt lgkmcnt(0)
	; wave barrier
	s_waitcnt lgkmcnt(0)
	ds_read_b128 v[8:11], v210
	ds_read_b128 v[160:163], v210 offset:2496
	ds_read_b128 v[76:79], v210 offset:4992
	;; [unrolled: 1-line block ×20, first 2 shown]
	global_load_dwordx4 v[144:147], v[84:85], off offset:848
	global_load_dwordx4 v[148:151], v[84:85], off offset:832
	;; [unrolled: 1-line block ×4, first 2 shown]
	s_movk_i32 s7, 0x4f
	s_mov_b32 s14, 0x37e14327
	s_mov_b32 s18, 0xe976ee23
	;; [unrolled: 1-line block ×18, first 2 shown]
	s_waitcnt vmcnt(3) lgkmcnt(14)
	v_mul_f64 v[142:143], v[68:69], v[146:147]
	s_waitcnt vmcnt(2)
	v_mul_f64 v[138:139], v[72:73], v[150:151]
	v_fmac_f64_e32 v[142:143], v[70:71], v[144:145]
	s_waitcnt vmcnt(0)
	v_mul_f64 v[86:87], v[162:163], v[166:167]
	v_mul_f64 v[134:135], v[160:161], v[166:167]
	v_fma_f64 v[132:133], v[160:161], v[164:165], -v[86:87]
	v_fmac_f64_e32 v[134:135], v[162:163], v[164:165]
	global_load_dwordx4 v[160:163], v[84:85], off offset:880
	global_load_dwordx4 v[168:171], v[84:85], off offset:864
	v_mul_f64 v[86:87], v[78:79], v[158:159]
	v_fma_f64 v[136:137], v[76:77], v[156:157], -v[86:87]
	v_mul_f64 v[76:77], v[76:77], v[158:159]
	v_fmac_f64_e32 v[76:77], v[78:79], v[156:157]
	v_mul_f64 v[78:79], v[74:75], v[150:151]
	v_fma_f64 v[78:79], v[72:73], v[148:149], -v[78:79]
	v_mul_f64 v[72:73], v[70:71], v[146:147]
	v_fma_f64 v[140:141], v[68:69], v[144:145], -v[72:73]
	v_fmac_f64_e32 v[138:139], v[74:75], v[148:149]
	s_waitcnt vmcnt(1)
	v_mul_f64 v[198:199], v[60:61], v[162:163]
	s_waitcnt vmcnt(0)
	v_mul_f64 v[68:69], v[66:67], v[170:171]
	v_fma_f64 v[152:153], v[64:65], v[168:169], -v[68:69]
	v_mul_f64 v[154:155], v[64:65], v[170:171]
	v_mul_f64 v[64:65], v[62:63], v[162:163]
	v_fma_f64 v[196:197], v[60:61], v[160:161], -v[64:65]
	s_waitcnt lgkmcnt(12)
	v_mul_f64 v[60:61], v[58:59], v[166:167]
	v_fma_f64 v[60:61], v[56:57], v[164:165], -v[60:61]
	v_mul_f64 v[56:57], v[56:57], v[166:167]
	v_fmac_f64_e32 v[56:57], v[58:59], v[164:165]
	s_waitcnt lgkmcnt(11)
	v_mul_f64 v[58:59], v[54:55], v[158:159]
	v_fma_f64 v[58:59], v[52:53], v[156:157], -v[58:59]
	v_mul_f64 v[52:53], v[52:53], v[158:159]
	v_fmac_f64_e32 v[52:53], v[54:55], v[156:157]
	;; [unrolled: 5-line block ×5, first 2 shown]
	s_waitcnt lgkmcnt(7)
	v_mul_f64 v[42:43], v[38:39], v[162:163]
	v_fma_f64 v[68:69], v[36:37], v[160:161], -v[42:43]
	v_mul_f64 v[70:71], v[36:37], v[162:163]
	v_accvgpr_read_b32 v37, a134
	v_mul_lo_u16_sdwa v36, v37, s7 dst_sel:DWORD dst_unused:UNUSED_PAD src0_sel:BYTE_0 src1_sel:DWORD
	v_lshrrev_b16_e32 v36, 12, v36
	v_mul_lo_u16_e32 v36, 52, v36
	v_sub_u16_e32 v36, v37, v36
	v_and_b32_e32 v81, 0xff, v36
	v_mad_u64_u32 v[82:83], s[6:7], v81, s6, v[82:83]
	v_fmac_f64_e32 v[154:155], v[66:67], v[168:169]
	global_load_dwordx4 v[84:87], v[82:83], off offset:848
	global_load_dwordx4 v[72:75], v[82:83], off offset:832
	;; [unrolled: 1-line block ×4, first 2 shown]
	v_fmac_f64_e32 v[70:71], v[38:39], v[160:161]
	v_fmac_f64_e32 v[198:199], v[62:63], v[160:161]
	s_mov_b32 s6, 0x36b3c0b5
	s_mov_b32 s7, 0x3fac98ee
	s_waitcnt vmcnt(3)
	v_accvgpr_write_b32 a137, v87
	s_waitcnt vmcnt(2)
	v_accvgpr_write_b32 a141, v75
	s_waitcnt vmcnt(1) lgkmcnt(4)
	v_mul_f64 v[62:63], v[28:29], v[66:67]
	s_waitcnt vmcnt(0)
	v_mul_f64 v[36:37], v[34:35], v[174:175]
	v_fma_f64 v[36:37], v[32:33], v[172:173], -v[36:37]
	v_mul_f64 v[38:39], v[32:33], v[174:175]
	v_mul_f64 v[32:33], v[30:31], v[66:67]
	v_fma_f64 v[42:43], v[28:29], v[64:65], -v[32:33]
	v_accvgpr_write_b32 a145, v67
	s_waitcnt lgkmcnt(3)
	v_mul_f64 v[28:29], v[26:27], v[74:75]
	v_accvgpr_write_b32 a144, v66
	v_accvgpr_write_b32 a143, v65
	;; [unrolled: 1-line block ×3, first 2 shown]
	v_fmac_f64_e32 v[62:63], v[30:31], v[64:65]
	v_fma_f64 v[64:65], v[24:25], v[72:73], -v[28:29]
	v_mul_f64 v[66:67], v[24:25], v[74:75]
	v_accvgpr_write_b32 a140, v74
	v_accvgpr_write_b32 a139, v73
	;; [unrolled: 1-line block ×3, first 2 shown]
	s_waitcnt lgkmcnt(2)
	v_mul_f64 v[24:25], v[22:23], v[86:87]
	v_mul_f64 v[74:75], v[20:21], v[86:87]
	v_fmac_f64_e32 v[66:67], v[26:27], v[72:73]
	v_fma_f64 v[72:73], v[20:21], v[84:85], -v[24:25]
	v_fmac_f64_e32 v[74:75], v[22:23], v[84:85]
	global_load_dwordx4 v[22:25], v[82:83], off offset:880
	global_load_dwordx4 v[26:29], v[82:83], off offset:864
	v_add_f64 v[30:31], v[138:139], v[142:143]
	v_add_f64 v[32:33], v[140:141], -v[78:79]
	v_fmac_f64_e32 v[38:39], v[34:35], v[172:173]
	v_accvgpr_write_b32 a136, v86
	v_accvgpr_write_b32 a135, v85
	;; [unrolled: 1-line block ×3, first 2 shown]
	v_add_f64 v[34:35], v[142:143], -v[138:139]
	s_waitcnt lgkmcnt(0)
	; wave barrier
	s_waitcnt lgkmcnt(0)
	v_accvgpr_write_b32 a150, v172
	v_accvgpr_write_b32 a151, v173
	v_accvgpr_write_b32 a152, v174
	v_accvgpr_write_b32 a153, v175
	s_waitcnt vmcnt(1)
	v_mul_f64 v[206:207], v[12:13], v[24:25]
	s_waitcnt vmcnt(0)
	v_mul_f64 v[20:21], v[18:19], v[28:29]
	v_fma_f64 v[200:201], v[16:17], v[26:27], -v[20:21]
	v_mul_f64 v[202:203], v[16:17], v[28:29]
	v_mul_f64 v[16:17], v[14:15], v[24:25]
	v_accvgpr_write_b32 a157, v29
	v_fma_f64 v[204:205], v[12:13], v[22:23], -v[16:17]
	v_accvgpr_write_b32 a149, v25
	v_add_f64 v[12:13], v[132:133], v[196:197]
	v_add_f64 v[20:21], v[136:137], v[152:153]
	v_accvgpr_write_b32 a156, v28
	v_accvgpr_write_b32 a155, v27
	;; [unrolled: 1-line block ×3, first 2 shown]
	v_fmac_f64_e32 v[202:203], v[18:19], v[26:27]
	v_accvgpr_write_b32 a148, v24
	v_accvgpr_write_b32 a147, v23
	;; [unrolled: 1-line block ×3, first 2 shown]
	v_fmac_f64_e32 v[206:207], v[14:15], v[22:23]
	v_add_f64 v[14:15], v[134:135], v[198:199]
	v_add_f64 v[22:23], v[76:77], v[154:155]
	v_add_f64 v[26:27], v[76:77], -v[154:155]
	v_add_f64 v[28:29], v[78:79], v[140:141]
	v_add_f64 v[76:77], v[20:21], v[12:13]
	;; [unrolled: 1-line block ×3, first 2 shown]
	v_add_f64 v[82:83], v[20:21], -v[12:13]
	v_add_f64 v[12:13], v[12:13], -v[28:29]
	;; [unrolled: 1-line block ×3, first 2 shown]
	v_add_f64 v[28:29], v[28:29], v[76:77]
	v_add_f64 v[18:19], v[134:135], -v[198:199]
	v_add_f64 v[24:25], v[136:137], -v[152:153]
	;; [unrolled: 1-line block ×5, first 2 shown]
	v_add_f64 v[30:31], v[30:31], v[78:79]
	v_add_f64 v[8:9], v[8:9], v[28:29]
	v_add_f64 v[16:17], v[132:133], -v[196:197]
	v_add_f64 v[86:87], v[32:33], v[24:25]
	v_add_f64 v[132:133], v[34:35], v[26:27]
	v_add_f64 v[134:135], v[32:33], -v[24:25]
	v_add_f64 v[136:137], v[34:35], -v[26:27]
	;; [unrolled: 1-line block ×3, first 2 shown]
	v_add_f64 v[10:11], v[10:11], v[30:31]
	v_pk_mov_b32 v[138:139], v[8:9], v[8:9] op_sel:[0,1]
	v_add_f64 v[32:33], v[16:17], -v[32:33]
	v_add_f64 v[34:35], v[18:19], -v[34:35]
	;; [unrolled: 1-line block ×3, first 2 shown]
	v_add_f64 v[16:17], v[86:87], v[16:17]
	v_add_f64 v[18:19], v[132:133], v[18:19]
	v_mul_f64 v[12:13], v[12:13], s[14:15]
	v_mul_f64 v[76:77], v[20:21], s[6:7]
	;; [unrolled: 1-line block ×6, first 2 shown]
	v_fmac_f64_e32 v[138:139], s[20:21], v[28:29]
	v_pk_mov_b32 v[28:29], v[10:11], v[10:11] op_sel:[0,1]
	v_mul_f64 v[14:15], v[14:15], s[14:15]
	v_mul_f64 v[134:135], v[24:25], s[16:17]
	v_fmac_f64_e32 v[28:29], s[20:21], v[30:31]
	v_fma_f64 v[30:31], v[82:83], s[22:23], -v[76:77]
	v_fma_f64 v[76:77], v[84:85], s[22:23], -v[78:79]
	;; [unrolled: 1-line block ×5, first 2 shown]
	v_fmac_f64_e32 v[132:133], s[26:27], v[34:35]
	v_fma_f64 v[34:35], v[34:35], s[30:31], -v[136:137]
	v_fmac_f64_e32 v[12:13], s[6:7], v[20:21]
	v_fma_f64 v[20:21], v[84:85], s[24:25], -v[14:15]
	v_fmac_f64_e32 v[14:15], s[6:7], v[22:23]
	v_fmac_f64_e32 v[86:87], s[26:27], v[32:33]
	v_fma_f64 v[32:33], v[32:33], s[30:31], -v[134:135]
	v_add_f64 v[26:27], v[30:31], v[138:139]
	v_add_f64 v[30:31], v[76:77], v[28:29]
	v_add_f64 v[76:77], v[78:79], v[138:139]
	v_fmac_f64_e32 v[34:35], s[28:29], v[18:19]
	v_add_f64 v[134:135], v[14:15], v[28:29]
	v_add_f64 v[78:79], v[20:21], v[28:29]
	v_fmac_f64_e32 v[86:87], s[28:29], v[16:17]
	v_fmac_f64_e32 v[82:83], s[28:29], v[16:17]
	;; [unrolled: 1-line block ×4, first 2 shown]
	v_add_f64 v[16:17], v[34:35], v[76:77]
	v_add_f64 v[28:29], v[76:77], -v[34:35]
	v_add_f64 v[76:77], v[60:61], v[68:69]
	v_add_f64 v[60:61], v[60:61], -v[68:69]
	v_add_f64 v[68:69], v[58:59], v[46:47]
	v_fmac_f64_e32 v[132:133], s[28:29], v[18:19]
	v_add_f64 v[18:19], v[78:79], -v[32:33]
	v_add_f64 v[20:21], v[26:27], -v[24:25]
	v_add_f64 v[22:23], v[82:83], v[30:31]
	v_add_f64 v[24:25], v[24:25], v[26:27]
	v_add_f64 v[26:27], v[30:31], -v[82:83]
	v_add_f64 v[30:31], v[32:33], v[78:79]
	v_add_f64 v[78:79], v[56:57], v[70:71]
	v_add_f64 v[56:57], v[56:57], -v[70:71]
	v_add_f64 v[70:71], v[52:53], v[40:41]
	v_add_f64 v[46:47], v[58:59], -v[46:47]
	v_add_f64 v[40:41], v[52:53], -v[40:41]
	v_add_f64 v[52:53], v[54:55], v[50:51]
	v_add_f64 v[58:59], v[48:49], v[44:45]
	v_add_f64 v[44:45], v[44:45], -v[48:49]
	v_add_f64 v[48:49], v[68:69], v[76:77]
	v_add_f64 v[50:51], v[50:51], -v[54:55]
	v_add_f64 v[54:55], v[70:71], v[78:79]
	v_add_f64 v[48:49], v[52:53], v[48:49]
	;; [unrolled: 1-line block ×3, first 2 shown]
	v_add_f64 v[82:83], v[68:69], -v[76:77]
	v_add_f64 v[76:77], v[76:77], -v[52:53]
	;; [unrolled: 1-line block ×3, first 2 shown]
	v_add_f64 v[52:53], v[58:59], v[54:55]
	v_add_f64 v[4:5], v[4:5], v[48:49]
	;; [unrolled: 1-line block ×3, first 2 shown]
	v_add_f64 v[14:15], v[134:135], -v[86:87]
	v_add_f64 v[32:33], v[84:85], -v[132:133]
	v_add_f64 v[34:35], v[86:87], v[134:135]
	v_add_f64 v[84:85], v[70:71], -v[78:79]
	v_add_f64 v[78:79], v[78:79], -v[58:59]
	;; [unrolled: 1-line block ×3, first 2 shown]
	v_add_f64 v[86:87], v[50:51], v[46:47]
	v_add_f64 v[132:133], v[44:45], v[40:41]
	v_add_f64 v[134:135], v[50:51], -v[46:47]
	v_add_f64 v[136:137], v[44:45], -v[40:41]
	;; [unrolled: 1-line block ×3, first 2 shown]
	v_add_f64 v[6:7], v[6:7], v[52:53]
	v_pk_mov_b32 v[138:139], v[4:5], v[4:5] op_sel:[0,1]
	v_add_f64 v[50:51], v[60:61], -v[50:51]
	v_add_f64 v[44:45], v[56:57], -v[44:45]
	;; [unrolled: 1-line block ×3, first 2 shown]
	v_add_f64 v[54:55], v[86:87], v[60:61]
	v_add_f64 v[56:57], v[132:133], v[56:57]
	v_mul_f64 v[58:59], v[76:77], s[14:15]
	v_mul_f64 v[60:61], v[78:79], s[14:15]
	;; [unrolled: 1-line block ×7, first 2 shown]
	v_fmac_f64_e32 v[138:139], s[20:21], v[48:49]
	v_pk_mov_b32 v[48:49], v[6:7], v[6:7] op_sel:[0,1]
	v_mul_f64 v[136:137], v[40:41], s[16:17]
	v_fmac_f64_e32 v[48:49], s[20:21], v[52:53]
	v_fma_f64 v[52:53], v[82:83], s[22:23], -v[76:77]
	v_fma_f64 v[76:77], v[84:85], s[22:23], -v[78:79]
	;; [unrolled: 1-line block ×3, first 2 shown]
	v_fmac_f64_e32 v[58:59], s[6:7], v[68:69]
	v_fma_f64 v[68:69], v[84:85], s[24:25], -v[60:61]
	v_fmac_f64_e32 v[60:61], s[6:7], v[70:71]
	v_fma_f64 v[70:71], v[46:47], s[16:17], -v[86:87]
	v_fma_f64 v[40:41], v[40:41], s[16:17], -v[132:133]
	v_fma_f64 v[82:83], v[50:51], s[30:31], -v[134:135]
	v_fmac_f64_e32 v[86:87], s[26:27], v[50:51]
	v_fmac_f64_e32 v[132:133], s[26:27], v[44:45]
	v_fma_f64 v[84:85], v[44:45], s[30:31], -v[136:137]
	v_add_f64 v[134:135], v[58:59], v[138:139]
	v_add_f64 v[58:59], v[52:53], v[138:139]
	;; [unrolled: 1-line block ×4, first 2 shown]
	v_fmac_f64_e32 v[70:71], s[28:29], v[54:55]
	v_fmac_f64_e32 v[40:41], s[28:29], v[56:57]
	;; [unrolled: 1-line block ×3, first 2 shown]
	v_add_f64 v[60:61], v[60:61], v[48:49]
	v_add_f64 v[78:79], v[78:79], v[138:139]
	v_fmac_f64_e32 v[86:87], s[28:29], v[54:55]
	v_fmac_f64_e32 v[132:133], s[28:29], v[56:57]
	;; [unrolled: 1-line block ×3, first 2 shown]
	v_add_f64 v[50:51], v[136:137], -v[82:83]
	v_add_f64 v[52:53], v[58:59], -v[40:41]
	v_add_f64 v[54:55], v[70:71], v[76:77]
	v_add_f64 v[56:57], v[40:41], v[58:59]
	v_add_f64 v[58:59], v[76:77], -v[70:71]
	v_add_f64 v[70:71], v[82:83], v[136:137]
	v_add_f64 v[40:41], v[36:37], v[204:205]
	;; [unrolled: 1-line block ×3, first 2 shown]
	v_add_f64 v[46:47], v[60:61], -v[86:87]
	v_add_f64 v[48:49], v[84:85], v[78:79]
	v_add_f64 v[68:69], v[78:79], -v[84:85]
	v_add_f64 v[78:79], v[86:87], v[60:61]
	v_add_f64 v[60:61], v[38:39], v[206:207]
	;; [unrolled: 1-line block ×4, first 2 shown]
	v_add_f64 v[64:65], v[72:73], -v[64:65]
	v_add_f64 v[72:73], v[82:83], v[40:41]
	v_add_f64 v[44:45], v[132:133], v[134:135]
	v_add_f64 v[76:77], v[134:135], -v[132:133]
	v_add_f64 v[132:133], v[66:67], v[74:75]
	v_add_f64 v[66:67], v[74:75], -v[66:67]
	v_add_f64 v[74:75], v[84:85], v[60:61]
	v_add_f64 v[72:73], v[86:87], v[72:73]
	v_add_f64 v[42:43], v[42:43], -v[200:201]
	v_add_f64 v[74:75], v[132:133], v[74:75]
	v_add_f64 v[0:1], v[0:1], v[72:73]
	v_add_f64 v[36:37], v[36:37], -v[204:205]
	v_add_f64 v[38:39], v[38:39], -v[206:207]
	;; [unrolled: 1-line block ×8, first 2 shown]
	v_add_f64 v[138:139], v[64:65], v[42:43]
	v_add_f64 v[142:143], v[64:65], -v[42:43]
	v_add_f64 v[2:3], v[2:3], v[74:75]
	v_pk_mov_b32 v[154:155], v[0:1], v[0:1] op_sel:[0,1]
	v_add_f64 v[60:61], v[60:61], -v[132:133]
	v_add_f64 v[140:141], v[66:67], v[62:63]
	v_add_f64 v[152:153], v[66:67], -v[62:63]
	v_add_f64 v[64:65], v[36:37], -v[64:65]
	;; [unrolled: 1-line block ×4, first 2 shown]
	v_add_f64 v[36:37], v[138:139], v[36:37]
	v_mul_f64 v[40:41], v[40:41], s[14:15]
	v_mul_f64 v[86:87], v[82:83], s[6:7]
	;; [unrolled: 1-line block ×4, first 2 shown]
	v_fmac_f64_e32 v[154:155], s[20:21], v[72:73]
	v_pk_mov_b32 v[72:73], v[2:3], v[2:3] op_sel:[0,1]
	v_add_f64 v[66:67], v[38:39], -v[66:67]
	v_add_f64 v[38:39], v[140:141], v[38:39]
	v_mul_f64 v[60:61], v[60:61], s[14:15]
	v_mul_f64 v[140:141], v[152:153], s[18:19]
	;; [unrolled: 1-line block ×4, first 2 shown]
	v_fmac_f64_e32 v[72:73], s[20:21], v[74:75]
	v_fma_f64 v[74:75], s[6:7], v[82:83], v[40:41]
	v_fma_f64 v[82:83], v[134:135], s[22:23], -v[86:87]
	v_fma_f64 v[86:87], v[136:137], s[22:23], -v[132:133]
	;; [unrolled: 1-line block ×5, first 2 shown]
	v_fmac_f64_e32 v[60:61], s[6:7], v[84:85]
	v_fma_f64 v[84:85], s[26:27], v[64:65], v[138:139]
	v_fma_f64 v[136:137], v[62:63], s[16:17], -v[140:141]
	v_fmac_f64_e32 v[140:141], s[26:27], v[66:67]
	v_fma_f64 v[138:139], v[64:65], s[30:31], -v[142:143]
	v_fma_f64 v[142:143], v[66:67], s[30:31], -v[152:153]
	v_add_f64 v[66:67], v[86:87], v[72:73]
	v_fmac_f64_e32 v[134:135], s[28:29], v[36:37]
	v_add_f64 v[152:153], v[74:75], v[154:155]
	v_add_f64 v[196:197], v[60:61], v[72:73]
	;; [unrolled: 1-line block ×5, first 2 shown]
	v_fmac_f64_e32 v[84:85], s[28:29], v[36:37]
	v_fmac_f64_e32 v[140:141], s[28:29], v[38:39]
	;; [unrolled: 1-line block ×5, first 2 shown]
	v_add_f64 v[62:63], v[134:135], v[66:67]
	ds_write_b128 v210, v[8:11]
	ds_write_b128 v210, v[12:15] offset:832
	ds_write_b128 v210, v[16:19] offset:1664
	;; [unrolled: 1-line block ×13, first 2 shown]
	v_lshlrev_b32_e32 v202, 4, v81
	v_accvgpr_read_b32 v56, a158
	v_add_f64 v[36:37], v[140:141], v[152:153]
	v_add_f64 v[38:39], v[196:197], -v[84:85]
	v_add_f64 v[40:41], v[142:143], v[74:75]
	v_add_f64 v[42:43], v[82:83], -v[138:139]
	v_add_f64 v[60:61], v[64:65], -v[136:137]
	v_add_f64 v[64:65], v[136:137], v[64:65]
	v_add_f64 v[66:67], v[66:67], -v[134:135]
	;; [unrolled: 3-line block ×3, first 2 shown]
	v_add_f64 v[134:135], v[84:85], v[196:197]
	ds_write_b128 v202, v[0:3] offset:11648
	ds_write_b128 v202, v[36:39] offset:12480
	;; [unrolled: 1-line block ×7, first 2 shown]
	v_add_co_u32_e32 v62, vcc, s4, v56
	v_mov_b32_e32 v81, s5
	v_addc_co_u32_e32 v63, vcc, 0, v81, vcc
	s_movk_i32 s6, 0x16a0
	v_add_co_u32_e32 v56, vcc, s6, v62
	v_addc_co_u32_e32 v57, vcc, 0, v63, vcc
	s_movk_i32 s5, 0x1000
	v_add_co_u32_e32 v62, vcc, s5, v62
	v_addc_co_u32_e32 v63, vcc, 0, v63, vcc
	s_waitcnt lgkmcnt(0)
	; wave barrier
	s_waitcnt lgkmcnt(0)
	ds_read_b128 v[24:27], v210
	ds_read_b128 v[58:61], v210 offset:5824
	ds_read_b128 v[52:55], v210 offset:11648
	;; [unrolled: 1-line block ×20, first 2 shown]
	global_load_dwordx4 v[62:65], v[62:63], off offset:1696
	s_nop 0
	global_load_dwordx4 v[66:69], v[56:57], off offset:16
	v_accvgpr_read_b32 v136, a97
	v_accvgpr_read_b32 v137, a99
	;; [unrolled: 1-line block ×4, first 2 shown]
	s_mov_b32 s7, 0xbfebb67a
	s_waitcnt vmcnt(1) lgkmcnt(14)
	v_mul_f64 v[56:57], v[60:61], v[64:65]
	v_fma_f64 v[56:57], v[58:59], v[62:63], -v[56:57]
	v_mul_f64 v[58:59], v[58:59], v[64:65]
	v_fmac_f64_e32 v[58:59], v[60:61], v[62:63]
	s_waitcnt vmcnt(0)
	v_mul_f64 v[60:61], v[54:55], v[68:69]
	v_fma_f64 v[60:61], v[52:53], v[66:67], -v[60:61]
	v_mul_f64 v[52:53], v[52:53], v[68:69]
	v_fmac_f64_e32 v[52:53], v[54:55], v[66:67]
	v_accvgpr_read_b32 v54, a166
	v_accvgpr_write_b32 a161, v65
	v_lshlrev_b32_e32 v54, 4, v54
	v_accvgpr_write_b32 a160, v64
	v_accvgpr_write_b32 a159, v63
	;; [unrolled: 1-line block ×3, first 2 shown]
	v_add_co_u32_e32 v62, vcc, s4, v54
	v_addc_co_u32_e32 v63, vcc, 0, v81, vcc
	v_add_co_u32_e32 v54, vcc, s6, v62
	v_addc_co_u32_e32 v55, vcc, 0, v63, vcc
	;; [unrolled: 2-line block ×3, first 2 shown]
	global_load_dwordx4 v[204:207], v[62:63], off offset:1696
	s_nop 0
	global_load_dwordx4 v[62:65], v[54:55], off offset:16
	v_accvgpr_write_b32 a165, v69
	v_accvgpr_write_b32 a164, v68
	;; [unrolled: 1-line block ×4, first 2 shown]
	s_waitcnt vmcnt(1)
	v_mul_f64 v[54:55], v[50:51], v[206:207]
	v_fma_f64 v[54:55], v[48:49], v[204:205], -v[54:55]
	v_mul_f64 v[48:49], v[48:49], v[206:207]
	v_fmac_f64_e32 v[48:49], v[50:51], v[204:205]
	s_waitcnt vmcnt(0)
	v_mul_f64 v[50:51], v[46:47], v[64:65]
	v_fma_f64 v[50:51], v[44:45], v[62:63], -v[50:51]
	v_mul_f64 v[44:45], v[44:45], v[64:65]
	v_fmac_f64_e32 v[44:45], v[46:47], v[62:63]
	v_accvgpr_read_b32 v46, a117
	v_accvgpr_write_b32 a169, v65
	v_lshlrev_b32_e32 v46, 4, v46
	v_accvgpr_write_b32 a168, v64
	v_accvgpr_write_b32 a167, v63
	;; [unrolled: 1-line block ×3, first 2 shown]
	v_add_co_u32_e32 v62, vcc, s4, v46
	v_addc_co_u32_e32 v63, vcc, 0, v81, vcc
	v_add_co_u32_e32 v46, vcc, s6, v62
	v_addc_co_u32_e32 v47, vcc, 0, v63, vcc
	;; [unrolled: 2-line block ×3, first 2 shown]
	global_load_dwordx4 v[212:215], v[62:63], off offset:1696
	global_load_dwordx4 v[216:219], v[46:47], off offset:16
	v_add_co_u32_e32 v62, vcc, s4, v136
	v_addc_co_u32_e32 v63, vcc, 0, v81, vcc
	s_waitcnt vmcnt(1) lgkmcnt(13)
	v_mul_f64 v[46:47], v[42:43], v[214:215]
	v_fma_f64 v[46:47], v[40:41], v[212:213], -v[46:47]
	v_mul_f64 v[40:41], v[40:41], v[214:215]
	v_fmac_f64_e32 v[40:41], v[42:43], v[212:213]
	s_waitcnt vmcnt(0) lgkmcnt(12)
	v_mul_f64 v[42:43], v[38:39], v[218:219]
	v_fma_f64 v[42:43], v[36:37], v[216:217], -v[42:43]
	v_mul_f64 v[36:37], v[36:37], v[218:219]
	v_fmac_f64_e32 v[36:37], v[38:39], v[216:217]
	v_add_co_u32_e32 v38, vcc, s6, v62
	v_addc_co_u32_e32 v39, vcc, 0, v63, vcc
	v_add_co_u32_e32 v62, vcc, s5, v62
	v_addc_co_u32_e32 v63, vcc, 0, v63, vcc
	global_load_dwordx4 v[220:223], v[62:63], off offset:1696
	global_load_dwordx4 v[224:227], v[38:39], off offset:16
	v_add_co_u32_e32 v70, vcc, s4, v137
	v_addc_co_u32_e32 v71, vcc, 0, v81, vcc
	v_add_co_u32_e32 v68, vcc, s6, v70
	v_addc_co_u32_e32 v69, vcc, 0, v71, vcc
	;; [unrolled: 2-line block ×7, first 2 shown]
	s_waitcnt vmcnt(1) lgkmcnt(10)
	v_mul_f64 v[38:39], v[234:235], v[222:223]
	v_mul_f64 v[62:63], v[232:233], v[222:223]
	s_waitcnt vmcnt(0) lgkmcnt(9)
	v_mul_f64 v[64:65], v[230:231], v[226:227]
	v_mul_f64 v[66:67], v[228:229], v[226:227]
	v_fma_f64 v[38:39], v[232:233], v[220:221], -v[38:39]
	v_fmac_f64_e32 v[62:63], v[234:235], v[220:221]
	v_fma_f64 v[64:65], v[228:229], v[224:225], -v[64:65]
	v_fmac_f64_e32 v[66:67], v[230:231], v[224:225]
	global_load_dwordx4 v[228:231], v[70:71], off offset:1696
	global_load_dwordx4 v[232:235], v[68:69], off offset:16
	s_waitcnt vmcnt(1) lgkmcnt(7)
	v_mul_f64 v[68:69], v[242:243], v[230:231]
	v_mul_f64 v[70:71], v[240:241], v[230:231]
	s_waitcnt vmcnt(0) lgkmcnt(6)
	v_mul_f64 v[72:73], v[238:239], v[234:235]
	v_mul_f64 v[74:75], v[236:237], v[234:235]
	v_fma_f64 v[68:69], v[240:241], v[228:229], -v[68:69]
	v_fmac_f64_e32 v[70:71], v[242:243], v[228:229]
	v_fma_f64 v[72:73], v[236:237], v[232:233], -v[72:73]
	v_fmac_f64_e32 v[74:75], v[238:239], v[232:233]
	global_load_dwordx4 v[236:239], v[78:79], off offset:1696
	global_load_dwordx4 v[240:243], v[76:77], off offset:16
	s_waitcnt vmcnt(1) lgkmcnt(4)
	v_mul_f64 v[76:77], v[250:251], v[238:239]
	s_waitcnt vmcnt(0) lgkmcnt(3)
	v_mul_f64 v[82:83], v[246:247], v[242:243]
	v_fma_f64 v[132:133], v[244:245], v[240:241], -v[82:83]
	v_add_co_u32_e32 v82, vcc, s6, v84
	v_addc_co_u32_e32 v83, vcc, 0, v81, vcc
	v_add_co_u32_e32 v84, vcc, s5, v84
	v_mul_f64 v[78:79], v[248:249], v[238:239]
	v_mul_f64 v[134:135], v[244:245], v[242:243]
	v_addc_co_u32_e32 v85, vcc, 0, v81, vcc
	v_fma_f64 v[76:77], v[248:249], v[236:237], -v[76:77]
	v_fmac_f64_e32 v[78:79], v[250:251], v[236:237]
	v_fmac_f64_e32 v[134:135], v[246:247], v[240:241]
	global_load_dwordx4 v[244:247], v[84:85], off offset:1696
	global_load_dwordx4 v[248:251], v[82:83], off offset:16
	s_mov_b32 s4, 0xe8584caa
	s_mov_b32 s5, 0x3febb67a
	;; [unrolled: 1-line block ×3, first 2 shown]
	s_waitcnt vmcnt(1) lgkmcnt(1)
	v_mul_f64 v[82:83], v[34:35], v[246:247]
	s_waitcnt vmcnt(0) lgkmcnt(0)
	v_mul_f64 v[142:143], v[28:29], v[250:251]
	v_fma_f64 v[82:83], v[32:33], v[244:245], -v[82:83]
	v_mul_f64 v[84:85], v[32:33], v[246:247]
	v_mul_f64 v[32:33], v[30:31], v[250:251]
	v_fmac_f64_e32 v[142:143], v[30:31], v[248:249]
	v_add_f64 v[30:31], v[56:57], v[60:61]
	v_fma_f64 v[86:87], v[28:29], v[248:249], -v[32:33]
	v_add_f64 v[28:29], v[24:25], v[56:57]
	v_fmac_f64_e32 v[24:25], -0.5, v[30:31]
	v_add_f64 v[30:31], v[58:59], -v[52:53]
	v_fmac_f64_e32 v[84:85], v[34:35], v[244:245]
	v_fma_f64 v[32:33], s[4:5], v[30:31], v[24:25]
	v_fmac_f64_e32 v[24:25], s[6:7], v[30:31]
	v_add_f64 v[30:31], v[26:27], v[58:59]
	v_add_f64 v[34:35], v[58:59], v[52:53]
	v_add_f64 v[30:31], v[30:31], v[52:53]
	v_fmac_f64_e32 v[26:27], -0.5, v[34:35]
	v_add_f64 v[52:53], v[56:57], -v[60:61]
	v_fma_f64 v[34:35], s[6:7], v[52:53], v[26:27]
	v_fmac_f64_e32 v[26:27], s[4:5], v[52:53]
	v_add_f64 v[52:53], v[20:21], v[54:55]
	v_add_f64 v[56:57], v[52:53], v[50:51]
	v_add_f64 v[52:53], v[54:55], v[50:51]
	v_fmac_f64_e32 v[20:21], -0.5, v[52:53]
	v_add_f64 v[58:59], v[48:49], -v[44:45]
	;; [unrolled: 7-line block ×5, first 2 shown]
	v_fma_f64 v[46:47], s[6:7], v[36:37], v[18:19]
	v_fmac_f64_e32 v[18:19], s[4:5], v[36:37]
	v_add_f64 v[36:37], v[12:13], v[38:39]
	v_add_f64 v[40:41], v[36:37], v[64:65]
	;; [unrolled: 1-line block ×4, first 2 shown]
	v_fmac_f64_e32 v[12:13], -0.5, v[36:37]
	v_add_f64 v[42:43], v[62:63], -v[66:67]
	v_add_f64 v[60:61], v[62:63], v[66:67]
	v_fma_f64 v[36:37], s[4:5], v[42:43], v[12:13]
	v_fmac_f64_e32 v[12:13], s[6:7], v[42:43]
	v_add_f64 v[42:43], v[14:15], v[62:63]
	v_fmac_f64_e32 v[14:15], -0.5, v[60:61]
	v_add_f64 v[60:61], v[38:39], -v[64:65]
	v_add_f64 v[62:63], v[68:69], v[72:73]
	v_add_f64 v[42:43], v[42:43], v[66:67]
	v_fma_f64 v[38:39], s[6:7], v[60:61], v[14:15]
	v_fmac_f64_e32 v[14:15], s[4:5], v[60:61]
	v_add_f64 v[60:61], v[8:9], v[68:69]
	v_fmac_f64_e32 v[8:9], -0.5, v[62:63]
	v_add_f64 v[62:63], v[70:71], -v[74:75]
	v_add_f64 v[66:67], v[70:71], v[74:75]
	v_fma_f64 v[64:65], s[4:5], v[62:63], v[8:9]
	v_fmac_f64_e32 v[8:9], s[6:7], v[62:63]
	v_add_f64 v[62:63], v[10:11], v[70:71]
	v_fmac_f64_e32 v[10:11], -0.5, v[66:67]
	v_add_f64 v[68:69], v[68:69], -v[72:73]
	v_add_f64 v[70:71], v[76:77], v[132:133]
	v_add_f64 v[62:63], v[62:63], v[74:75]
	v_fma_f64 v[66:67], s[6:7], v[68:69], v[10:11]
	v_fmac_f64_e32 v[10:11], s[4:5], v[68:69]
	v_add_f64 v[68:69], v[4:5], v[76:77]
	v_fmac_f64_e32 v[4:5], -0.5, v[70:71]
	v_add_f64 v[70:71], v[78:79], -v[134:135]
	v_add_f64 v[74:75], v[78:79], v[134:135]
	v_add_f64 v[60:61], v[60:61], v[72:73]
	v_fma_f64 v[72:73], s[4:5], v[70:71], v[4:5]
	v_fmac_f64_e32 v[4:5], s[6:7], v[70:71]
	v_add_f64 v[70:71], v[6:7], v[78:79]
	v_fmac_f64_e32 v[6:7], -0.5, v[74:75]
	v_add_f64 v[76:77], v[76:77], -v[132:133]
	v_add_f64 v[78:79], v[82:83], v[86:87]
	v_fma_f64 v[74:75], s[6:7], v[76:77], v[6:7]
	v_fmac_f64_e32 v[6:7], s[4:5], v[76:77]
	v_add_f64 v[76:77], v[0:1], v[82:83]
	v_fmac_f64_e32 v[0:1], -0.5, v[78:79]
	v_add_f64 v[78:79], v[84:85], -v[142:143]
	v_add_f64 v[68:69], v[68:69], v[132:133]
	v_fma_f64 v[132:133], s[4:5], v[78:79], v[0:1]
	v_fmac_f64_e32 v[0:1], s[6:7], v[78:79]
	v_add_f64 v[78:79], v[2:3], v[84:85]
	v_add_f64 v[84:85], v[84:85], v[142:143]
	v_fmac_f64_e32 v[2:3], -0.5, v[84:85]
	v_add_f64 v[82:83], v[82:83], -v[86:87]
	v_add_f64 v[70:71], v[70:71], v[134:135]
	v_add_f64 v[76:77], v[76:77], v[86:87]
	;; [unrolled: 1-line block ×3, first 2 shown]
	v_fma_f64 v[134:135], s[6:7], v[82:83], v[2:3]
	v_fmac_f64_e32 v[2:3], s[4:5], v[82:83]
	ds_write_b128 v210, v[28:31]
	ds_write_b128 v210, v[32:35] offset:5824
	ds_write_b128 v210, v[24:27] offset:11648
	;; [unrolled: 1-line block ×20, first 2 shown]
	s_movk_i32 s4, 0x4440
	v_accvgpr_read_b32 v24, a0
	v_add_co_u32_e32 v8, vcc, s4, v24
	v_addc_co_u32_e32 v9, vcc, 0, v80, vcc
	s_movk_i32 s6, 0x4000
	v_add_co_u32_e32 v10, vcc, s6, v24
	v_addc_co_u32_e32 v11, vcc, 0, v80, vcc
	s_waitcnt lgkmcnt(0)
	; wave barrier
	s_waitcnt lgkmcnt(0)
	global_load_dwordx4 v[10:13], v[10:11], off offset:1088
	ds_read_b128 v[4:7], v210
	s_movk_i32 s4, 0x6000
	s_waitcnt vmcnt(0) lgkmcnt(0)
	v_mul_f64 v[14:15], v[6:7], v[12:13]
	v_fma_f64 v[14:15], v[4:5], v[10:11], -v[14:15]
	v_mul_f64 v[16:17], v[4:5], v[12:13]
	v_add_co_u32_e32 v4, vcc, s4, v24
	v_fmac_f64_e32 v[16:17], v[6:7], v[10:11]
	v_addc_co_u32_e32 v5, vcc, 0, v80, vcc
	ds_write_b128 v210, v[14:17]
	global_load_dwordx4 v[14:17], v[4:5], off offset:1632
	ds_read_b128 v[10:13], v210 offset:8736
	s_movk_i32 s4, 0x7000
	s_waitcnt vmcnt(0) lgkmcnt(0)
	v_mul_f64 v[6:7], v[12:13], v[16:17]
	v_mul_f64 v[20:21], v[10:11], v[16:17]
	v_fma_f64 v[18:19], v[10:11], v[14:15], -v[6:7]
	v_fmac_f64_e32 v[20:21], v[12:13], v[14:15]
	global_load_dwordx4 v[14:17], v[8:9], off offset:832
	ds_read_b128 v[10:13], v210 offset:832
	ds_write_b128 v210, v[18:21] offset:8736
	s_waitcnt vmcnt(0) lgkmcnt(1)
	v_mul_f64 v[6:7], v[12:13], v[16:17]
	v_mul_f64 v[20:21], v[10:11], v[16:17]
	v_fma_f64 v[18:19], v[10:11], v[14:15], -v[6:7]
	v_fmac_f64_e32 v[20:21], v[12:13], v[14:15]
	global_load_dwordx4 v[14:17], v[4:5], off offset:2464
	ds_read_b128 v[10:13], v210 offset:9568
	ds_write_b128 v210, v[18:21] offset:832
	;; [unrolled: 8-line block ×5, first 2 shown]
	s_waitcnt vmcnt(0) lgkmcnt(1)
	v_mul_f64 v[6:7], v[12:13], v[16:17]
	v_fma_f64 v[18:19], v[10:11], v[14:15], -v[6:7]
	v_add_co_u32_e32 v6, vcc, s4, v24
	v_mul_f64 v[20:21], v[10:11], v[16:17]
	v_addc_co_u32_e32 v7, vcc, 0, v80, vcc
	v_fmac_f64_e32 v[20:21], v[12:13], v[14:15]
	global_load_dwordx4 v[14:17], v[6:7], off offset:32
	ds_read_b128 v[10:13], v210 offset:11232
	ds_write_b128 v210, v[18:21] offset:2496
	s_movk_i32 s4, 0x5000
	v_add_co_u32_e32 v22, vcc, s4, v24
	v_addc_co_u32_e32 v23, vcc, 0, v80, vcc
	s_mov_b32 s4, 0x8000
	s_waitcnt vmcnt(0) lgkmcnt(1)
	v_mul_f64 v[18:19], v[12:13], v[16:17]
	v_mul_f64 v[20:21], v[10:11], v[16:17]
	v_fma_f64 v[18:19], v[10:11], v[14:15], -v[18:19]
	v_fmac_f64_e32 v[20:21], v[12:13], v[14:15]
	global_load_dwordx4 v[14:17], v[8:9], off offset:3328
	ds_read_b128 v[10:13], v210 offset:3328
	ds_write_b128 v210, v[18:21] offset:11232
	s_waitcnt vmcnt(0) lgkmcnt(1)
	v_mul_f64 v[18:19], v[12:13], v[16:17]
	v_mul_f64 v[20:21], v[10:11], v[16:17]
	v_fma_f64 v[18:19], v[10:11], v[14:15], -v[18:19]
	v_fmac_f64_e32 v[20:21], v[12:13], v[14:15]
	global_load_dwordx4 v[14:17], v[6:7], off offset:864
	ds_read_b128 v[10:13], v210 offset:12064
	ds_write_b128 v210, v[18:21] offset:3328
	;; [unrolled: 8-line block ×9, first 2 shown]
	s_waitcnt vmcnt(0) lgkmcnt(1)
	v_mul_f64 v[6:7], v[12:13], v[16:17]
	v_fma_f64 v[18:19], v[10:11], v[14:15], -v[6:7]
	v_mul_f64 v[20:21], v[10:11], v[16:17]
	v_add_co_u32_e32 v10, vcc, s4, v24
	v_fmac_f64_e32 v[20:21], v[12:13], v[14:15]
	v_addc_co_u32_e32 v11, vcc, 0, v80, vcc
	ds_write_b128 v210, v[18:21] offset:6656
	global_load_dwordx4 v[16:19], v[10:11], off offset:96
	ds_read_b128 v[12:15], v210 offset:15392
	s_waitcnt vmcnt(0) lgkmcnt(0)
	v_mul_f64 v[6:7], v[14:15], v[18:19]
	v_fma_f64 v[20:21], v[12:13], v[16:17], -v[6:7]
	global_load_dwordx4 v[4:7], v[4:5], off offset:384
	v_mul_f64 v[22:23], v[12:13], v[18:19]
	v_fmac_f64_e32 v[22:23], v[14:15], v[16:17]
	ds_read_b128 v[12:15], v210 offset:7488
	ds_write_b128 v210, v[20:23] offset:15392
	s_waitcnt vmcnt(0) lgkmcnt(1)
	v_mul_f64 v[16:17], v[14:15], v[6:7]
	v_fma_f64 v[16:17], v[12:13], v[4:5], -v[16:17]
	v_mul_f64 v[18:19], v[12:13], v[6:7]
	global_load_dwordx4 v[10:13], v[10:11], off offset:928
	v_fmac_f64_e32 v[18:19], v[14:15], v[4:5]
	ds_read_b128 v[4:7], v210 offset:16224
	ds_write_b128 v210, v[16:19] offset:7488
	s_waitcnt vmcnt(0) lgkmcnt(1)
	v_mul_f64 v[14:15], v[6:7], v[12:13]
	v_mul_f64 v[16:17], v[4:5], v[12:13]
	v_fma_f64 v[14:15], v[4:5], v[10:11], -v[14:15]
	v_fmac_f64_e32 v[16:17], v[6:7], v[10:11]
	ds_write_b128 v210, v[14:17] offset:16224
	s_and_saveexec_b64 s[4:5], s[0:1]
	s_cbranch_execz .LBB0_17
; %bb.16:
	v_add_co_u32_e32 v10, vcc, 0x2000, v8
	v_addc_co_u32_e32 v11, vcc, 0, v9, vcc
	global_load_dwordx4 v[10:13], v[10:11], off offset:128
	ds_read_b128 v[4:7], v210 offset:8320
	v_add_co_u32_e32 v8, vcc, s6, v8
	v_addc_co_u32_e32 v9, vcc, 0, v9, vcc
	s_waitcnt vmcnt(0) lgkmcnt(0)
	v_mul_f64 v[14:15], v[6:7], v[12:13]
	v_mul_f64 v[16:17], v[4:5], v[12:13]
	v_fma_f64 v[14:15], v[4:5], v[10:11], -v[14:15]
	v_fmac_f64_e32 v[16:17], v[6:7], v[10:11]
	global_load_dwordx4 v[8:11], v[8:9], off offset:672
	ds_read_b128 v[4:7], v210 offset:17056
	ds_write_b128 v210, v[14:17] offset:8320
	s_waitcnt vmcnt(0) lgkmcnt(1)
	v_mul_f64 v[12:13], v[6:7], v[10:11]
	v_mul_f64 v[14:15], v[4:5], v[10:11]
	v_fma_f64 v[12:13], v[4:5], v[8:9], -v[12:13]
	v_fmac_f64_e32 v[14:15], v[6:7], v[8:9]
	ds_write_b128 v210, v[12:15] offset:17056
.LBB0_17:
	s_or_b64 exec, exec, s[4:5]
	s_waitcnt lgkmcnt(0)
	; wave barrier
	s_waitcnt lgkmcnt(0)
	ds_read_b128 v[76:79], v210
	ds_read_b128 v[64:67], v210 offset:832
	ds_read_b128 v[132:135], v210 offset:8736
	;; [unrolled: 1-line block ×19, first 2 shown]
	s_mov_b64 s[4:5], exec
	v_accvgpr_read_b32 v201, a89
	v_accvgpr_read_b32 v189, a93
	;; [unrolled: 1-line block ×3, first 2 shown]
	s_and_b64 s[6:7], s[4:5], s[0:1]
	v_accvgpr_read_b32 v200, a88
	v_accvgpr_read_b32 v199, a87
	v_accvgpr_read_b32 v198, a86
	v_accvgpr_read_b32 v188, a92
	v_accvgpr_read_b32 v187, a91
	v_accvgpr_read_b32 v186, a90
	v_accvgpr_read_b32 v89, a175
	v_accvgpr_read_b32 v90, a176
	v_accvgpr_read_b32 v91, a177
	s_mov_b64 exec, s[6:7]
	s_cbranch_execz .LBB0_19
; %bb.18:
	ds_read_b128 v[0:3], v210 offset:8320
	ds_read_b128 a[170:173], v210 offset:17056
.LBB0_19:
	s_or_b64 exec, exec, s[4:5]
	s_waitcnt lgkmcnt(0)
	v_add_f64 v[8:9], v[4:5], -v[8:9]
	v_add_f64 v[10:11], v[6:7], -v[10:11]
	v_fma_f64 v[152:153], v[4:5], 2.0, -v[8:9]
	v_fma_f64 v[154:155], v[6:7], 2.0, -v[10:11]
	v_accvgpr_read_b32 v4, a170
	v_accvgpr_read_b32 v5, a171
	v_add_f64 v[80:81], v[76:77], -v[132:133]
	v_add_f64 v[82:83], v[78:79], -v[134:135]
	;; [unrolled: 1-line block ×3, first 2 shown]
	v_fma_f64 v[76:77], v[76:77], 2.0, -v[80:81]
	v_fma_f64 v[78:79], v[78:79], 2.0, -v[82:83]
	v_add_f64 v[72:73], v[64:65], -v[72:73]
	v_add_f64 v[74:75], v[66:67], -v[74:75]
	;; [unrolled: 1-line block ×3, first 2 shown]
	v_fma_f64 v[24:25], v[0:1], 2.0, -v[4:5]
	v_accvgpr_read_b32 v0, a94
	v_fma_f64 v[64:65], v[64:65], 2.0, -v[72:73]
	v_fma_f64 v[66:67], v[66:67], 2.0, -v[74:75]
	v_add_f64 v[68:69], v[60:61], -v[68:69]
	v_add_f64 v[70:71], v[62:63], -v[70:71]
	s_waitcnt lgkmcnt(0)
	; wave barrier
	ds_write_b128 v0, v[76:79]
	ds_write_b128 v0, v[80:83] offset:16
	v_accvgpr_read_b32 v0, a95
	v_fma_f64 v[60:61], v[60:61], 2.0, -v[68:69]
	v_fma_f64 v[62:63], v[62:63], 2.0, -v[70:71]
	v_add_f64 v[56:57], v[48:49], -v[56:57]
	v_add_f64 v[58:59], v[50:51], -v[58:59]
	;; [unrolled: 1-line block ×9, first 2 shown]
	ds_write_b128 v0, v[64:67]
	ds_write_b128 v0, v[72:75] offset:16
	v_accvgpr_read_b32 v0, a96
	v_fma_f64 v[48:49], v[48:49], 2.0, -v[56:57]
	v_fma_f64 v[50:51], v[50:51], 2.0, -v[58:59]
	;; [unrolled: 1-line block ×10, first 2 shown]
	v_add_f64 v[20:21], v[12:13], -v[20:21]
	v_add_f64 v[22:23], v[14:15], -v[22:23]
	v_accvgpr_read_b32 v6, a172
	v_accvgpr_read_b32 v7, a173
	ds_write_b128 v0, v[60:63]
	ds_write_b128 v0, v[68:71] offset:16
	ds_write_b128 v136, v[48:51]
	ds_write_b128 v136, v[56:59] offset:16
	;; [unrolled: 2-line block ×5, first 2 shown]
	v_accvgpr_read_b32 v0, a102
	v_fma_f64 v[12:13], v[12:13], 2.0, -v[20:21]
	v_fma_f64 v[14:15], v[14:15], 2.0, -v[22:23]
	v_add_f64 v[6:7], v[2:3], -v[6:7]
	ds_write_b128 v0, v[16:19]
	ds_write_b128 v0, v[132:135] offset:16
	v_accvgpr_read_b32 v0, a103
	v_fma_f64 v[26:27], v[2:3], 2.0, -v[6:7]
	ds_write_b128 v0, v[12:15]
	ds_write_b128 v0, v[20:23] offset:16
	v_accvgpr_read_b32 v0, a104
	ds_write_b128 v0, v[152:155]
	ds_write_b128 v0, v[8:11] offset:16
	s_and_saveexec_b64 s[4:5], s[0:1]
	s_cbranch_execz .LBB0_21
; %bb.20:
	v_accvgpr_read_b32 v0, a98
	ds_write_b128 v0, v[24:27]
	ds_write_b128 v0, v[4:7] offset:16
.LBB0_21:
	s_or_b64 exec, exec, s[4:5]
	s_waitcnt lgkmcnt(0)
	; wave barrier
	s_waitcnt lgkmcnt(0)
	ds_read_b128 v[44:47], v210
	ds_read_b128 v[40:43], v210 offset:832
	ds_read_b128 v[132:135], v210 offset:8736
	;; [unrolled: 1-line block ×19, first 2 shown]
	s_and_saveexec_b64 s[4:5], s[0:1]
	s_cbranch_execz .LBB0_23
; %bb.22:
	ds_read_b128 v[24:27], v210 offset:8320
	ds_read_b128 v[4:7], v210 offset:17056
.LBB0_23:
	s_or_b64 exec, exec, s[4:5]
	s_waitcnt lgkmcnt(14)
	v_mul_f64 v[80:81], v[130:131], v[134:135]
	v_fmac_f64_e32 v[80:81], v[128:129], v[132:133]
	v_mul_f64 v[82:83], v[130:131], v[132:133]
	s_waitcnt lgkmcnt(13)
	v_mul_f64 v[132:133], v[130:131], v[78:79]
	v_fmac_f64_e32 v[132:133], v[128:129], v[76:77]
	v_mul_f64 v[76:77], v[130:131], v[76:77]
	v_fma_f64 v[76:77], v[128:129], v[78:79], -v[76:77]
	s_waitcnt lgkmcnt(12)
	v_mul_f64 v[78:79], v[130:131], v[74:75]
	s_waitcnt lgkmcnt(0)
	v_mul_f64 v[174:175], v[130:131], v[50:51]
	v_fma_f64 v[82:83], v[128:129], v[134:135], -v[82:83]
	v_mul_f64 v[84:85], v[130:131], v[254:255]
	v_mul_f64 v[86:87], v[130:131], v[252:253]
	v_fmac_f64_e32 v[78:79], v[128:129], v[72:73]
	v_mul_f64 v[72:73], v[130:131], v[72:73]
	v_mul_f64 v[140:141], v[130:131], v[54:55]
	v_fmac_f64_e32 v[174:175], v[128:129], v[48:49]
	v_mul_f64 v[48:49], v[130:131], v[48:49]
	v_fmac_f64_e32 v[84:85], v[128:129], v[252:253]
	v_fma_f64 v[86:87], v[128:129], v[254:255], -v[86:87]
	v_fma_f64 v[72:73], v[128:129], v[74:75], -v[72:73]
	v_mul_f64 v[74:75], v[130:131], v[70:71]
	v_mul_f64 v[154:155], v[130:131], v[58:59]
	v_fmac_f64_e32 v[140:141], v[128:129], v[52:53]
	v_mul_f64 v[52:53], v[130:131], v[52:53]
	v_fma_f64 v[176:177], v[128:129], v[50:51], -v[48:49]
	v_add_f64 v[48:49], v[44:45], -v[80:81]
	v_add_f64 v[50:51], v[46:47], -v[82:83]
	v_fmac_f64_e32 v[74:75], v[128:129], v[68:69]
	v_mul_f64 v[68:69], v[130:131], v[68:69]
	v_mul_f64 v[142:143], v[130:131], v[62:63]
	v_fmac_f64_e32 v[154:155], v[128:129], v[56:57]
	v_mul_f64 v[56:57], v[130:131], v[56:57]
	v_fma_f64 v[172:173], v[128:129], v[54:55], -v[52:53]
	v_fma_f64 v[44:45], v[44:45], 2.0, -v[48:49]
	v_fma_f64 v[46:47], v[46:47], 2.0, -v[50:51]
	v_add_f64 v[52:53], v[40:41], -v[84:85]
	v_add_f64 v[54:55], v[42:43], -v[86:87]
	v_accvgpr_read_b32 v80, a105
	v_fma_f64 v[68:69], v[128:129], v[70:71], -v[68:69]
	v_mul_f64 v[70:71], v[130:131], v[66:67]
	v_fmac_f64_e32 v[142:143], v[128:129], v[60:61]
	v_mul_f64 v[60:61], v[130:131], v[60:61]
	v_fma_f64 v[208:209], v[128:129], v[58:59], -v[56:57]
	v_fma_f64 v[40:41], v[40:41], 2.0, -v[52:53]
	v_fma_f64 v[42:43], v[42:43], 2.0, -v[54:55]
	v_add_f64 v[56:57], v[36:37], -v[132:133]
	v_add_f64 v[58:59], v[38:39], -v[76:77]
	s_waitcnt lgkmcnt(0)
	; wave barrier
	ds_write_b128 v80, v[44:47]
	ds_write_b128 v80, v[48:51] offset:32
	v_accvgpr_read_b32 v44, a106
	v_fmac_f64_e32 v[70:71], v[128:129], v[64:65]
	v_mul_f64 v[64:65], v[130:131], v[64:65]
	v_fma_f64 v[152:153], v[128:129], v[62:63], -v[60:61]
	v_fma_f64 v[36:37], v[36:37], 2.0, -v[56:57]
	v_fma_f64 v[38:39], v[38:39], 2.0, -v[58:59]
	v_add_f64 v[60:61], v[32:33], -v[78:79]
	v_add_f64 v[62:63], v[34:35], -v[72:73]
	ds_write_b128 v44, v[40:43]
	ds_write_b128 v44, v[52:55] offset:32
	v_accvgpr_read_b32 v40, a107
	v_fma_f64 v[134:135], v[128:129], v[66:67], -v[64:65]
	v_fma_f64 v[32:33], v[32:33], 2.0, -v[60:61]
	v_fma_f64 v[34:35], v[34:35], 2.0, -v[62:63]
	v_add_f64 v[64:65], v[28:29], -v[74:75]
	v_add_f64 v[66:67], v[30:31], -v[68:69]
	ds_write_b128 v40, v[36:39]
	ds_write_b128 v40, v[56:59] offset:32
	v_accvgpr_read_b32 v36, a108
	v_fma_f64 v[28:29], v[28:29], 2.0, -v[64:65]
	v_fma_f64 v[30:31], v[30:31], 2.0, -v[66:67]
	v_add_f64 v[68:69], v[0:1], -v[70:71]
	v_add_f64 v[70:71], v[2:3], -v[134:135]
	ds_write_b128 v36, v[32:35]
	ds_write_b128 v36, v[60:63] offset:32
	v_accvgpr_read_b32 v32, a109
	v_mul_f64 v[178:179], v[130:131], v[6:7]
	v_fma_f64 v[72:73], v[0:1], 2.0, -v[68:69]
	v_fma_f64 v[74:75], v[2:3], 2.0, -v[70:71]
	v_add_f64 v[0:1], v[20:21], -v[142:143]
	v_add_f64 v[2:3], v[22:23], -v[152:153]
	ds_write_b128 v32, v[28:31]
	ds_write_b128 v32, v[64:67] offset:32
	v_accvgpr_read_b32 v28, a110
	v_fmac_f64_e32 v[178:179], v[128:129], v[4:5]
	v_mul_f64 v[4:5], v[130:131], v[4:5]
	v_fma_f64 v[76:77], v[20:21], 2.0, -v[0:1]
	v_fma_f64 v[78:79], v[22:23], 2.0, -v[2:3]
	v_add_f64 v[252:253], v[8:9], -v[154:155]
	v_add_f64 v[254:255], v[10:11], -v[208:209]
	ds_write_b128 v28, v[72:75]
	ds_write_b128 v28, v[68:71] offset:32
	v_accvgpr_read_b32 v28, a111
	v_fma_f64 v[180:181], v[128:129], v[6:7], -v[4:5]
	v_fma_f64 v[128:129], v[8:9], 2.0, -v[252:253]
	v_fma_f64 v[130:131], v[10:11], 2.0, -v[254:255]
	v_add_f64 v[8:9], v[16:17], -v[140:141]
	v_add_f64 v[10:11], v[18:19], -v[172:173]
	ds_write_b128 v28, v[76:79]
	ds_write_b128 v28, v[0:3] offset:32
	v_accvgpr_read_b32 v28, a112
	v_fma_f64 v[4:5], v[16:17], 2.0, -v[8:9]
	v_fma_f64 v[6:7], v[18:19], 2.0, -v[10:11]
	v_add_f64 v[16:17], v[12:13], -v[174:175]
	v_add_f64 v[18:19], v[14:15], -v[176:177]
	;; [unrolled: 1-line block ×4, first 2 shown]
	ds_write_b128 v28, v[128:131]
	ds_write_b128 v28, v[252:255] offset:32
	v_accvgpr_read_b32 v28, a113
	v_fma_f64 v[12:13], v[12:13], 2.0, -v[16:17]
	v_fma_f64 v[14:15], v[14:15], 2.0, -v[18:19]
	;; [unrolled: 1-line block ×4, first 2 shown]
	ds_write_b128 v28, v[4:7]
	ds_write_b128 v28, v[8:11] offset:32
	v_accvgpr_read_b32 v28, a114
	ds_write_b128 v28, v[12:15]
	ds_write_b128 v28, v[16:19] offset:32
	s_and_saveexec_b64 s[4:5], s[0:1]
	s_cbranch_execz .LBB0_25
; %bb.24:
	s_movk_i32 s6, 0x47c
	v_accvgpr_read_b32 v28, a49
	v_accvgpr_read_b32 v29, a115
	v_and_or_b32 v28, v29, s6, v28
	v_lshlrev_b32_e32 v28, 4, v28
	ds_write_b128 v28, v[24:27]
	ds_write_b128 v28, v[20:23] offset:32
.LBB0_25:
	s_or_b64 exec, exec, s[4:5]
	s_waitcnt lgkmcnt(0)
	; wave barrier
	s_waitcnt lgkmcnt(0)
	ds_read_b128 v[28:31], v210
	ds_read_b128 v[76:79], v210 offset:1344
	ds_read_b128 v[72:75], v210 offset:2688
	;; [unrolled: 1-line block ×12, first 2 shown]
	s_and_saveexec_b64 s[4:5], s[2:3]
	s_cbranch_execz .LBB0_27
; %bb.26:
	ds_read_b128 v[0:3], v210 offset:832
	ds_read_b128 v[128:131], v210 offset:2176
	;; [unrolled: 1-line block ×13, first 2 shown]
.LBB0_27:
	s_or_b64 exec, exec, s[4:5]
	s_waitcnt lgkmcnt(11)
	v_mul_f64 v[80:81], v[200:201], v[78:79]
	v_fmac_f64_e32 v[80:81], v[198:199], v[76:77]
	v_mul_f64 v[76:77], v[200:201], v[76:77]
	v_fma_f64 v[76:77], v[198:199], v[78:79], -v[76:77]
	s_waitcnt lgkmcnt(10)
	v_mul_f64 v[78:79], v[188:189], v[74:75]
	v_fmac_f64_e32 v[78:79], v[186:187], v[72:73]
	v_mul_f64 v[72:73], v[188:189], v[72:73]
	v_fma_f64 v[74:75], v[186:187], v[74:75], -v[72:73]
	s_waitcnt lgkmcnt(9)
	v_mul_f64 v[72:73], v[90:91], v[70:71]
	v_fmac_f64_e32 v[72:73], v[88:89], v[68:69]
	v_mul_f64 v[68:69], v[90:91], v[68:69]
	v_fma_f64 v[70:71], v[88:89], v[70:71], -v[68:69]
	s_waitcnt lgkmcnt(8)
	v_mul_f64 v[68:69], v[94:95], v[66:67]
	v_fmac_f64_e32 v[68:69], v[92:93], v[64:65]
	v_mul_f64 v[64:65], v[94:95], v[64:65]
	v_fma_f64 v[66:67], v[92:93], v[66:67], -v[64:65]
	s_waitcnt lgkmcnt(7)
	v_mul_f64 v[64:65], v[98:99], v[62:63]
	v_fmac_f64_e32 v[64:65], v[96:97], v[60:61]
	v_mul_f64 v[60:61], v[98:99], v[60:61]
	v_fma_f64 v[62:63], v[96:97], v[62:63], -v[60:61]
	s_waitcnt lgkmcnt(6)
	v_mul_f64 v[60:61], v[114:115], v[58:59]
	v_fmac_f64_e32 v[60:61], v[112:113], v[56:57]
	v_mul_f64 v[56:57], v[114:115], v[56:57]
	v_fma_f64 v[56:57], v[112:113], v[58:59], -v[56:57]
	s_waitcnt lgkmcnt(5)
	v_mul_f64 v[58:59], v[110:111], v[54:55]
	v_fmac_f64_e32 v[58:59], v[108:109], v[52:53]
	v_mul_f64 v[52:53], v[110:111], v[52:53]
	v_fma_f64 v[52:53], v[108:109], v[54:55], -v[52:53]
	s_waitcnt lgkmcnt(4)
	v_mul_f64 v[54:55], v[102:103], v[50:51]
	v_fmac_f64_e32 v[54:55], v[100:101], v[48:49]
	v_mul_f64 v[48:49], v[102:103], v[48:49]
	v_fma_f64 v[48:49], v[100:101], v[50:51], -v[48:49]
	s_waitcnt lgkmcnt(3)
	v_mul_f64 v[50:51], v[126:127], v[46:47]
	v_fmac_f64_e32 v[50:51], v[124:125], v[44:45]
	v_mul_f64 v[44:45], v[126:127], v[44:45]
	v_fma_f64 v[44:45], v[124:125], v[46:47], -v[44:45]
	s_waitcnt lgkmcnt(2)
	v_mul_f64 v[46:47], v[122:123], v[42:43]
	v_fmac_f64_e32 v[46:47], v[120:121], v[40:41]
	v_mul_f64 v[40:41], v[122:123], v[40:41]
	v_fma_f64 v[40:41], v[120:121], v[42:43], -v[40:41]
	s_waitcnt lgkmcnt(1)
	v_mul_f64 v[42:43], v[118:119], v[38:39]
	v_fmac_f64_e32 v[42:43], v[116:117], v[36:37]
	v_mul_f64 v[36:37], v[118:119], v[36:37]
	v_fma_f64 v[36:37], v[116:117], v[38:39], -v[36:37]
	s_waitcnt lgkmcnt(0)
	v_mul_f64 v[38:39], v[106:107], v[34:35]
	v_fmac_f64_e32 v[38:39], v[104:105], v[32:33]
	v_mul_f64 v[32:33], v[106:107], v[32:33]
	v_fma_f64 v[82:83], v[104:105], v[34:35], -v[32:33]
	v_add_f64 v[32:33], v[28:29], v[80:81]
	v_add_f64 v[32:33], v[32:33], v[78:79]
	;; [unrolled: 1-line block ×17, first 2 shown]
	s_mov_b32 s20, 0xb2365da1
	v_add_f64 v[34:35], v[34:35], v[48:49]
	v_add_f64 v[32:33], v[32:33], v[42:43]
	v_add_f64 v[86:87], v[76:77], v[82:83]
	s_mov_b32 s26, 0x2ef20147
	s_mov_b32 s21, 0xbfd6b1d8
	v_add_f64 v[34:35], v[34:35], v[44:45]
	v_add_f64 v[32:33], v[32:33], v[38:39]
	;; [unrolled: 1-line block ×3, first 2 shown]
	v_add_f64 v[38:39], v[80:81], -v[38:39]
	s_mov_b32 s14, 0x4267c47c
	s_mov_b32 s18, 0x42a4c3d2
	s_mov_b32 s22, 0x66966769
	s_mov_b32 s27, 0xbfedeba7
	v_mul_f64 v[208:209], v[86:87], s[20:21]
	s_mov_b32 s43, 0x3fedeba7
	s_mov_b32 s42, s26
	;; [unrolled: 1-line block ×4, first 2 shown]
	v_add_f64 v[34:35], v[34:35], v[40:41]
	v_add_f64 v[76:77], v[76:77], -v[82:83]
	s_mov_b32 s15, 0xbfddbe06
	s_mov_b32 s4, 0xe00740e9
	;; [unrolled: 1-line block ×6, first 2 shown]
	v_fma_f64 v[184:185], s[42:43], v[38:39], v[208:209]
	v_fmac_f64_e32 v[208:209], s[26:27], v[38:39]
	v_pk_mov_b32 v[136:137], v[186:187], v[186:187] op_sel:[0,1]
	s_mov_b32 s35, 0xbfe5384d
	s_mov_b32 s24, 0xd0032e0c
	;; [unrolled: 1-line block ×4, first 2 shown]
	v_add_f64 v[34:35], v[34:35], v[36:37]
	v_mul_f64 v[80:81], v[76:77], s[14:15]
	s_mov_b32 s5, 0x3fec55a7
	v_mul_f64 v[140:141], v[76:77], s[18:19]
	s_mov_b32 s7, 0x3fe22d96
	;; [unrolled: 2-line block ×3, first 2 shown]
	v_mul_f64 v[180:181], v[76:77], s[26:27]
	v_pk_mov_b32 v[138:139], v[188:189], v[188:189] op_sel:[0,1]
	v_add_f64 v[186:187], v[30:31], v[208:209]
	v_mul_f64 v[208:209], v[76:77], s[34:35]
	s_mov_b32 s25, 0xbfe7f3cc
	v_mul_f64 v[76:77], v[76:77], s[36:37]
	s_mov_b32 s31, 0xbfef11f4
	v_add_f64 v[34:35], v[34:35], v[82:83]
	v_fma_f64 v[82:83], s[4:5], v[84:85], v[80:81]
	v_fma_f64 v[80:81], v[84:85], s[4:5], -v[80:81]
	v_fma_f64 v[142:143], s[6:7], v[84:85], v[140:141]
	v_fma_f64 v[140:141], v[84:85], s[6:7], -v[140:141]
	;; [unrolled: 2-line block ×6, first 2 shown]
	v_add_f64 v[82:83], v[28:29], v[82:83]
	v_mul_f64 v[132:133], v[86:87], s[4:5]
	s_mov_b32 s29, 0x3fddbe06
	s_mov_b32 s28, s14
	v_add_f64 v[80:81], v[28:29], v[80:81]
	v_add_f64 v[142:143], v[28:29], v[142:143]
	v_mul_f64 v[152:153], v[86:87], s[6:7]
	s_mov_b32 s45, 0x3fea55e2
	s_mov_b32 s44, s18
	v_add_f64 v[140:141], v[28:29], v[140:141]
	;; [unrolled: 5-line block ×3, first 2 shown]
	v_add_f64 v[182:183], v[28:29], v[182:183]
	v_add_f64 v[180:181], v[28:29], v[180:181]
	;; [unrolled: 1-line block ×3, first 2 shown]
	v_mul_f64 v[190:191], v[86:87], s[24:25]
	s_mov_b32 s41, 0x3fe5384d
	s_mov_b32 s40, s34
	v_add_f64 v[194:195], v[28:29], v[194:195]
	v_add_f64 v[208:209], v[28:29], v[208:209]
	v_mul_f64 v[86:87], v[86:87], s[30:31]
	s_mov_b32 s47, 0x3fcea1e5
	s_mov_b32 s46, s36
	v_add_f64 v[28:29], v[28:29], v[76:77]
	v_add_f64 v[76:77], v[74:75], v[36:37]
	v_add_f64 v[36:37], v[74:75], -v[36:37]
	v_fma_f64 v[134:135], s[28:29], v[38:39], v[132:133]
	v_fmac_f64_e32 v[132:133], s[14:15], v[38:39]
	v_fma_f64 v[154:155], s[44:45], v[38:39], v[152:153]
	v_fmac_f64_e32 v[152:153], s[18:19], v[38:39]
	v_fma_f64 v[178:179], s[38:39], v[38:39], v[176:177]
	v_fmac_f64_e32 v[176:177], s[22:23], v[38:39]
	v_fma_f64 v[192:193], s[40:41], v[38:39], v[190:191]
	v_fmac_f64_e32 v[190:191], s[34:35], v[38:39]
	v_fma_f64 v[196:197], s[46:47], v[38:39], v[86:87]
	v_fmac_f64_e32 v[86:87], s[36:37], v[38:39]
	v_add_f64 v[38:39], v[78:79], v[42:43]
	v_mul_f64 v[74:75], v[36:37], s[18:19]
	v_add_f64 v[42:43], v[78:79], -v[42:43]
	v_fma_f64 v[78:79], s[6:7], v[38:39], v[74:75]
	v_add_f64 v[78:79], v[78:79], v[82:83]
	v_mul_f64 v[82:83], v[76:77], s[6:7]
	v_add_f64 v[132:133], v[30:31], v[132:133]
	v_fma_f64 v[84:85], s[44:45], v[42:43], v[82:83]
	v_fma_f64 v[74:75], v[38:39], s[6:7], -v[74:75]
	v_fmac_f64_e32 v[82:83], s[18:19], v[42:43]
	v_add_f64 v[74:75], v[74:75], v[80:81]
	v_add_f64 v[80:81], v[82:83], v[132:133]
	v_mul_f64 v[82:83], v[36:37], s[26:27]
	v_add_f64 v[134:135], v[30:31], v[134:135]
	v_add_f64 v[154:155], v[30:31], v[154:155]
	;; [unrolled: 1-line block ×10, first 2 shown]
	v_fma_f64 v[86:87], s[20:21], v[38:39], v[82:83]
	v_mul_f64 v[132:133], v[76:77], s[20:21]
	v_fma_f64 v[82:83], v[38:39], s[20:21], -v[82:83]
	v_add_f64 v[84:85], v[84:85], v[134:135]
	v_fma_f64 v[134:135], s[42:43], v[42:43], v[132:133]
	v_add_f64 v[82:83], v[82:83], v[140:141]
	v_fmac_f64_e32 v[132:133], s[26:27], v[42:43]
	v_mul_f64 v[140:141], v[36:37], s[36:37]
	v_add_f64 v[86:87], v[86:87], v[142:143]
	v_add_f64 v[132:133], v[132:133], v[152:153]
	v_fma_f64 v[142:143], s[30:31], v[38:39], v[140:141]
	v_mul_f64 v[152:153], v[76:77], s[30:31]
	v_fma_f64 v[140:141], v[38:39], s[30:31], -v[140:141]
	v_add_f64 v[134:135], v[134:135], v[154:155]
	v_fma_f64 v[154:155], s[46:47], v[42:43], v[152:153]
	v_add_f64 v[140:141], v[140:141], v[172:173]
	v_fmac_f64_e32 v[152:153], s[36:37], v[42:43]
	v_mul_f64 v[172:173], v[36:37], s[40:41]
	v_add_f64 v[142:143], v[142:143], v[174:175]
	v_add_f64 v[152:153], v[152:153], v[176:177]
	v_fma_f64 v[174:175], s[24:25], v[38:39], v[172:173]
	v_mul_f64 v[176:177], v[76:77], s[24:25]
	v_fma_f64 v[172:173], v[38:39], s[24:25], -v[172:173]
	v_add_f64 v[154:155], v[154:155], v[178:179]
	v_fma_f64 v[178:179], s[34:35], v[42:43], v[176:177]
	v_add_f64 v[172:173], v[172:173], v[180:181]
	v_mul_f64 v[180:181], v[36:37], s[38:39]
	v_add_f64 v[174:175], v[174:175], v[182:183]
	v_add_f64 v[178:179], v[178:179], v[184:185]
	v_fmac_f64_e32 v[176:177], s[40:41], v[42:43]
	v_fma_f64 v[182:183], s[16:17], v[38:39], v[180:181]
	v_mul_f64 v[184:185], v[76:77], s[16:17]
	v_mul_f64 v[36:37], v[36:37], s[28:29]
	v_add_f64 v[176:177], v[176:177], v[186:187]
	v_add_f64 v[182:183], v[182:183], v[188:189]
	v_fma_f64 v[186:187], s[22:23], v[42:43], v[184:185]
	v_fma_f64 v[180:181], v[38:39], s[16:17], -v[180:181]
	v_fmac_f64_e32 v[184:185], s[38:39], v[42:43]
	v_fma_f64 v[188:189], s[4:5], v[38:39], v[36:37]
	v_mul_f64 v[76:77], v[76:77], s[4:5]
	v_fma_f64 v[36:37], v[38:39], s[4:5], -v[36:37]
	v_add_f64 v[38:39], v[70:71], v[40:41]
	v_add_f64 v[40:41], v[70:71], -v[40:41]
	v_add_f64 v[184:185], v[184:185], v[190:191]
	v_fma_f64 v[190:191], s[14:15], v[42:43], v[76:77]
	v_add_f64 v[28:29], v[36:37], v[28:29]
	v_fmac_f64_e32 v[76:77], s[28:29], v[42:43]
	v_add_f64 v[36:37], v[72:73], v[46:47]
	v_add_f64 v[42:43], v[72:73], -v[46:47]
	v_mul_f64 v[46:47], v[40:41], s[22:23]
	v_fma_f64 v[70:71], s[16:17], v[36:37], v[46:47]
	v_mul_f64 v[72:73], v[38:39], s[16:17]
	v_fma_f64 v[46:47], v[36:37], s[16:17], -v[46:47]
	v_add_f64 v[30:31], v[76:77], v[30:31]
	v_fma_f64 v[76:77], s[38:39], v[42:43], v[72:73]
	v_add_f64 v[46:47], v[46:47], v[74:75]
	v_fmac_f64_e32 v[72:73], s[22:23], v[42:43]
	v_mul_f64 v[74:75], v[40:41], s[36:37]
	v_add_f64 v[70:71], v[70:71], v[78:79]
	v_add_f64 v[72:73], v[72:73], v[80:81]
	v_fma_f64 v[78:79], s[30:31], v[36:37], v[74:75]
	v_mul_f64 v[80:81], v[38:39], s[30:31]
	v_fma_f64 v[74:75], v[36:37], s[30:31], -v[74:75]
	v_add_f64 v[76:77], v[76:77], v[84:85]
	v_fma_f64 v[84:85], s[46:47], v[42:43], v[80:81]
	v_add_f64 v[74:75], v[74:75], v[82:83]
	v_fmac_f64_e32 v[80:81], s[36:37], v[42:43]
	v_mul_f64 v[82:83], v[40:41], s[42:43]
	v_add_f64 v[78:79], v[78:79], v[86:87]
	v_add_f64 v[80:81], v[80:81], v[132:133]
	;; [unrolled: 10-line block ×4, first 2 shown]
	v_fma_f64 v[174:175], s[6:7], v[36:37], v[172:173]
	v_mul_f64 v[176:177], v[38:39], s[6:7]
	v_mul_f64 v[38:39], v[38:39], s[24:25]
	v_add_f64 v[180:181], v[180:181], v[194:195]
	v_add_f64 v[174:175], v[174:175], v[182:183]
	v_fma_f64 v[172:173], v[36:37], s[6:7], -v[172:173]
	v_mul_f64 v[40:41], v[40:41], s[34:35]
	v_fma_f64 v[182:183], s[40:41], v[42:43], v[38:39]
	v_fmac_f64_e32 v[38:39], s[34:35], v[42:43]
	v_add_f64 v[154:155], v[154:155], v[178:179]
	v_fma_f64 v[178:179], s[44:45], v[42:43], v[176:177]
	v_add_f64 v[172:173], v[172:173], v[180:181]
	v_fmac_f64_e32 v[176:177], s[18:19], v[42:43]
	v_fma_f64 v[180:181], s[24:25], v[36:37], v[40:41]
	v_fma_f64 v[36:37], v[36:37], s[24:25], -v[40:41]
	v_add_f64 v[30:31], v[38:39], v[30:31]
	v_add_f64 v[38:39], v[66:67], v[44:45]
	v_add_f64 v[42:43], v[66:67], -v[44:45]
	v_add_f64 v[28:29], v[36:37], v[28:29]
	v_add_f64 v[36:37], v[68:69], v[50:51]
	v_add_f64 v[40:41], v[68:69], -v[50:51]
	v_mul_f64 v[44:45], v[42:43], s[26:27]
	v_mul_f64 v[66:67], v[38:39], s[20:21]
	v_fma_f64 v[50:51], s[20:21], v[36:37], v[44:45]
	v_fma_f64 v[68:69], s[42:43], v[40:41], v[66:67]
	v_fma_f64 v[44:45], v[36:37], s[20:21], -v[44:45]
	v_fmac_f64_e32 v[66:67], s[26:27], v[40:41]
	v_add_f64 v[44:45], v[44:45], v[46:47]
	v_add_f64 v[46:47], v[66:67], v[72:73]
	v_mul_f64 v[66:67], v[42:43], s[40:41]
	v_add_f64 v[50:51], v[50:51], v[70:71]
	v_fma_f64 v[70:71], s[24:25], v[36:37], v[66:67]
	v_mul_f64 v[72:73], v[38:39], s[24:25]
	v_fma_f64 v[66:67], v[36:37], s[24:25], -v[66:67]
	v_add_f64 v[68:69], v[68:69], v[76:77]
	v_fma_f64 v[76:77], s[34:35], v[40:41], v[72:73]
	v_add_f64 v[66:67], v[66:67], v[74:75]
	v_fmac_f64_e32 v[72:73], s[40:41], v[40:41]
	v_mul_f64 v[74:75], v[42:43], s[28:29]
	v_add_f64 v[70:71], v[70:71], v[78:79]
	v_add_f64 v[72:73], v[72:73], v[80:81]
	v_fma_f64 v[78:79], s[4:5], v[36:37], v[74:75]
	v_mul_f64 v[80:81], v[38:39], s[4:5]
	v_fma_f64 v[74:75], v[36:37], s[4:5], -v[74:75]
	v_add_f64 v[76:77], v[76:77], v[84:85]
	v_fma_f64 v[84:85], s[14:15], v[40:41], v[80:81]
	v_add_f64 v[74:75], v[74:75], v[82:83]
	v_fmac_f64_e32 v[80:81], s[28:29], v[40:41]
	v_mul_f64 v[82:83], v[42:43], s[22:23]
	v_add_f64 v[78:79], v[78:79], v[86:87]
	v_add_f64 v[80:81], v[80:81], v[132:133]
	v_fma_f64 v[86:87], s[16:17], v[36:37], v[82:83]
	v_mul_f64 v[132:133], v[38:39], s[16:17]
	v_fma_f64 v[82:83], v[36:37], s[16:17], -v[82:83]
	v_add_f64 v[84:85], v[84:85], v[134:135]
	v_fma_f64 v[134:135], s[38:39], v[40:41], v[132:133]
	v_add_f64 v[82:83], v[82:83], v[140:141]
	v_fmac_f64_e32 v[132:133], s[22:23], v[40:41]
	v_mul_f64 v[140:141], v[42:43], s[46:47]
	v_add_f64 v[86:87], v[86:87], v[142:143]
	v_add_f64 v[132:133], v[132:133], v[152:153]
	v_fma_f64 v[142:143], s[30:31], v[36:37], v[140:141]
	v_mul_f64 v[152:153], v[38:39], s[30:31]
	v_fma_f64 v[140:141], v[36:37], s[30:31], -v[140:141]
	v_mul_f64 v[42:43], v[42:43], s[44:45]
	v_mul_f64 v[38:39], v[38:39], s[6:7]
	v_add_f64 v[142:143], v[142:143], v[174:175]
	v_add_f64 v[140:141], v[140:141], v[172:173]
	v_fma_f64 v[172:173], s[6:7], v[36:37], v[42:43]
	v_fma_f64 v[174:175], s[18:19], v[40:41], v[38:39]
	v_fma_f64 v[36:37], v[36:37], s[6:7], -v[42:43]
	v_fmac_f64_e32 v[38:39], s[44:45], v[40:41]
	v_add_f64 v[42:43], v[62:63], -v[48:49]
	v_add_f64 v[28:29], v[36:37], v[28:29]
	v_add_f64 v[30:31], v[38:39], v[30:31]
	;; [unrolled: 1-line block ×4, first 2 shown]
	v_mul_f64 v[48:49], v[42:43], s[34:35]
	v_add_f64 v[134:135], v[134:135], v[154:155]
	v_fma_f64 v[154:155], s[36:37], v[40:41], v[152:153]
	v_fmac_f64_e32 v[152:153], s[46:47], v[40:41]
	v_add_f64 v[40:41], v[64:65], -v[54:55]
	v_fma_f64 v[54:55], s[24:25], v[36:37], v[48:49]
	v_add_f64 v[50:51], v[54:55], v[50:51]
	v_mul_f64 v[54:55], v[38:39], s[24:25]
	v_fma_f64 v[48:49], v[36:37], s[24:25], -v[48:49]
	v_fma_f64 v[62:63], s[40:41], v[40:41], v[54:55]
	v_add_f64 v[44:45], v[48:49], v[44:45]
	v_fmac_f64_e32 v[54:55], s[34:35], v[40:41]
	v_mul_f64 v[48:49], v[42:43], s[38:39]
	v_add_f64 v[46:47], v[54:55], v[46:47]
	v_fma_f64 v[54:55], s[16:17], v[36:37], v[48:49]
	v_mul_f64 v[64:65], v[38:39], s[16:17]
	v_fma_f64 v[48:49], v[36:37], s[16:17], -v[48:49]
	v_add_f64 v[62:63], v[62:63], v[68:69]
	v_fma_f64 v[68:69], s[22:23], v[40:41], v[64:65]
	v_add_f64 v[48:49], v[48:49], v[66:67]
	v_fmac_f64_e32 v[64:65], s[38:39], v[40:41]
	v_mul_f64 v[66:67], v[42:43], s[18:19]
	v_add_f64 v[54:55], v[54:55], v[70:71]
	v_add_f64 v[64:65], v[64:65], v[72:73]
	v_fma_f64 v[70:71], s[6:7], v[36:37], v[66:67]
	v_mul_f64 v[72:73], v[38:39], s[6:7]
	v_fma_f64 v[66:67], v[36:37], s[6:7], -v[66:67]
	v_add_f64 v[68:69], v[68:69], v[76:77]
	v_fma_f64 v[76:77], s[44:45], v[40:41], v[72:73]
	v_add_f64 v[66:67], v[66:67], v[74:75]
	v_fmac_f64_e32 v[72:73], s[18:19], v[40:41]
	v_mul_f64 v[74:75], v[42:43], s[46:47]
	v_add_f64 v[70:71], v[70:71], v[78:79]
	v_add_f64 v[72:73], v[72:73], v[80:81]
	v_fma_f64 v[78:79], s[30:31], v[36:37], v[74:75]
	v_mul_f64 v[80:81], v[38:39], s[30:31]
	v_fma_f64 v[74:75], v[36:37], s[30:31], -v[74:75]
	v_add_f64 v[186:187], v[186:187], v[192:193]
	v_add_f64 v[188:189], v[188:189], v[208:209]
	;; [unrolled: 1-line block ×3, first 2 shown]
	v_fma_f64 v[84:85], s[36:37], v[40:41], v[80:81]
	v_add_f64 v[74:75], v[74:75], v[82:83]
	v_fmac_f64_e32 v[80:81], s[46:47], v[40:41]
	v_mul_f64 v[82:83], v[42:43], s[28:29]
	v_add_f64 v[190:191], v[190:191], v[196:197]
	v_add_f64 v[178:179], v[178:179], v[186:187]
	;; [unrolled: 1-line block ×6, first 2 shown]
	v_fma_f64 v[86:87], s[4:5], v[36:37], v[82:83]
	v_mul_f64 v[132:133], v[38:39], s[4:5]
	v_fma_f64 v[82:83], v[36:37], s[4:5], -v[82:83]
	v_mul_f64 v[42:43], v[42:43], s[26:27]
	v_add_f64 v[182:183], v[182:183], v[190:191]
	v_add_f64 v[154:155], v[154:155], v[178:179]
	;; [unrolled: 1-line block ×5, first 2 shown]
	v_fma_f64 v[134:135], s[14:15], v[40:41], v[132:133]
	v_add_f64 v[82:83], v[82:83], v[140:141]
	v_fmac_f64_e32 v[132:133], s[28:29], v[40:41]
	v_fma_f64 v[140:141], s[20:21], v[36:37], v[42:43]
	v_mul_f64 v[38:39], v[38:39], s[20:21]
	v_fma_f64 v[36:37], v[36:37], s[20:21], -v[42:43]
	v_add_f64 v[178:179], v[56:57], -v[52:53]
	v_add_f64 v[174:175], v[174:175], v[182:183]
	v_add_f64 v[86:87], v[86:87], v[142:143]
	;; [unrolled: 1-line block ×4, first 2 shown]
	v_fma_f64 v[142:143], s[42:43], v[40:41], v[38:39]
	v_add_f64 v[152:153], v[36:37], v[28:29]
	v_add_f64 v[172:173], v[60:61], v[58:59]
	v_mul_f64 v[36:37], v[178:179], s[36:37]
	v_add_f64 v[142:143], v[142:143], v[174:175]
	v_fmac_f64_e32 v[38:39], s[26:27], v[40:41]
	v_add_f64 v[174:175], v[56:57], v[52:53]
	v_fma_f64 v[28:29], s[30:31], v[172:173], v[36:37]
	v_fma_f64 v[36:37], v[172:173], s[30:31], -v[36:37]
	v_add_f64 v[134:135], v[134:135], v[154:155]
	v_add_f64 v[154:155], v[38:39], v[30:31]
	v_add_f64 v[176:177], v[60:61], -v[58:59]
	v_mul_f64 v[38:39], v[174:175], s[30:31]
	v_add_f64 v[36:37], v[36:37], v[44:45]
	v_mul_f64 v[44:45], v[178:179], s[28:29]
	v_fma_f64 v[30:31], s[46:47], v[176:177], v[38:39]
	v_fmac_f64_e32 v[38:39], s[36:37], v[176:177]
	v_fma_f64 v[40:41], s[4:5], v[172:173], v[44:45]
	v_add_f64 v[38:39], v[38:39], v[46:47]
	v_add_f64 v[40:41], v[40:41], v[54:55]
	v_mul_f64 v[46:47], v[174:175], s[4:5]
	v_fma_f64 v[44:45], v[172:173], s[4:5], -v[44:45]
	v_mul_f64 v[52:53], v[178:179], s[34:35]
	v_mul_f64 v[54:55], v[174:175], s[24:25]
	;; [unrolled: 1-line block ×3, first 2 shown]
	v_add_f64 v[28:29], v[28:29], v[50:51]
	v_fma_f64 v[42:43], s[14:15], v[176:177], v[46:47]
	v_add_f64 v[44:45], v[44:45], v[48:49]
	v_fma_f64 v[48:49], s[24:25], v[172:173], v[52:53]
	v_fma_f64 v[50:51], s[40:41], v[176:177], v[54:55]
	;; [unrolled: 1-line block ×3, first 2 shown]
	v_add_f64 v[30:31], v[30:31], v[62:63]
	v_add_f64 v[42:43], v[42:43], v[68:69]
	v_fmac_f64_e32 v[46:47], s[28:29], v[176:177]
	v_add_f64 v[48:49], v[48:49], v[70:71]
	v_add_f64 v[50:51], v[50:51], v[76:77]
	v_fma_f64 v[52:53], v[172:173], s[24:25], -v[52:53]
	v_fmac_f64_e32 v[54:55], s[34:35], v[176:177]
	v_add_f64 v[56:57], v[56:57], v[78:79]
	v_mul_f64 v[62:63], v[174:175], s[6:7]
	v_fma_f64 v[60:61], v[172:173], s[6:7], -v[60:61]
	v_mul_f64 v[68:69], v[178:179], s[26:27]
	v_mul_f64 v[70:71], v[174:175], s[20:21]
	;; [unrolled: 1-line block ×4, first 2 shown]
	v_add_f64 v[46:47], v[46:47], v[64:65]
	v_add_f64 v[52:53], v[52:53], v[66:67]
	;; [unrolled: 1-line block ×3, first 2 shown]
	v_fma_f64 v[58:59], s[18:19], v[176:177], v[62:63]
	v_add_f64 v[60:61], v[60:61], v[74:75]
	v_fmac_f64_e32 v[62:63], s[44:45], v[176:177]
	v_fma_f64 v[64:65], s[20:21], v[172:173], v[68:69]
	v_fma_f64 v[66:67], s[42:43], v[176:177], v[70:71]
	v_fma_f64 v[68:69], v[172:173], s[20:21], -v[68:69]
	v_fmac_f64_e32 v[70:71], s[26:27], v[176:177]
	v_fma_f64 v[72:73], s[16:17], v[172:173], v[76:77]
	v_fma_f64 v[74:75], s[22:23], v[176:177], v[78:79]
	v_fma_f64 v[76:77], v[172:173], s[16:17], -v[76:77]
	v_fmac_f64_e32 v[78:79], s[38:39], v[176:177]
	v_add_f64 v[58:59], v[58:59], v[84:85]
	v_add_f64 v[62:63], v[62:63], v[80:81]
	;; [unrolled: 1-line block ×10, first 2 shown]
	s_waitcnt lgkmcnt(0)
	; wave barrier
	ds_write_b128 v211, v[32:35]
	ds_write_b128 v211, v[28:31] offset:64
	ds_write_b128 v211, v[40:43] offset:128
	;; [unrolled: 1-line block ×12, first 2 shown]
	s_and_saveexec_b64 s[48:49], s[2:3]
	s_cbranch_execz .LBB0_29
; %bb.28:
	v_mul_f64 v[36:37], v[98:99], v[14:15]
	v_fmac_f64_e32 v[36:37], v[96:97], v[12:13]
	v_mul_f64 v[12:13], v[98:99], v[12:13]
	v_mul_f64 v[38:39], v[102:103], v[22:23]
	v_fma_f64 v[50:51], v[96:97], v[14:15], -v[12:13]
	v_mul_f64 v[12:13], v[102:103], v[20:21]
	v_fmac_f64_e32 v[38:39], v[100:101], v[20:21]
	v_fma_f64 v[48:49], v[100:101], v[22:23], -v[12:13]
	v_mul_f64 v[46:47], v[94:95], v[10:11]
	v_accvgpr_read_b32 v20, a130
	v_fmac_f64_e32 v[46:47], v[92:93], v[8:9]
	v_accvgpr_read_b32 v21, a131
	v_accvgpr_read_b32 v22, a132
	v_accvgpr_read_b32 v23, a133
	v_mul_f64 v[8:9], v[94:95], v[8:9]
	v_mul_f64 v[44:45], v[126:127], v[22:23]
	v_fma_f64 v[58:59], v[92:93], v[10:11], -v[8:9]
	v_mul_f64 v[8:9], v[126:127], v[20:21]
	v_fmac_f64_e32 v[44:45], v[124:125], v[20:21]
	v_fma_f64 v[56:57], v[124:125], v[22:23], -v[8:9]
	v_mul_f64 v[54:55], v[90:91], v[6:7]
	v_accvgpr_read_b32 v20, a126
	v_mul_f64 v[32:33], v[114:115], v[18:19]
	v_fmac_f64_e32 v[54:55], v[88:89], v[4:5]
	v_accvgpr_read_b32 v21, a127
	v_mul_f64 v[4:5], v[90:91], v[4:5]
	v_fmac_f64_e32 v[32:33], v[112:113], v[16:17]
	v_mul_f64 v[34:35], v[110:111], v[26:27]
	v_mul_f64 v[16:17], v[114:115], v[16:17]
	v_accvgpr_read_b32 v22, a128
	v_accvgpr_read_b32 v23, a129
	v_fma_f64 v[70:71], v[88:89], v[6:7], -v[4:5]
	v_mul_f64 v[4:5], v[122:123], v[20:21]
	v_fmac_f64_e32 v[34:35], v[108:109], v[24:25]
	v_fma_f64 v[40:41], v[112:113], v[18:19], -v[16:17]
	v_mul_f64 v[16:17], v[110:111], v[24:25]
	v_mul_f64 v[52:53], v[122:123], v[22:23]
	v_fma_f64 v[64:65], v[120:121], v[22:23], -v[4:5]
	v_accvgpr_read_b32 v22, a122
	v_accvgpr_read_b32 v23, a123
	;; [unrolled: 1-line block ×4, first 2 shown]
	v_mul_f64 v[6:7], v[138:139], v[252:253]
	v_mul_f64 v[60:61], v[118:119], v[24:25]
	v_fma_f64 v[78:79], v[136:137], v[254:255], -v[6:7]
	v_mul_f64 v[6:7], v[118:119], v[22:23]
	v_fmac_f64_e32 v[60:61], v[116:117], v[22:23]
	v_fma_f64 v[74:75], v[116:117], v[24:25], -v[6:7]
	v_accvgpr_read_b32 v114, a118
	v_accvgpr_read_b32 v116, a120
	v_accvgpr_read_b32 v117, a121
	v_mul_f64 v[72:73], v[200:201], v[130:131]
	v_accvgpr_read_b32 v115, a119
	v_mul_f64 v[68:69], v[106:107], v[116:117]
	v_mul_f64 v[24:25], v[200:201], v[128:129]
	;; [unrolled: 1-line block ×3, first 2 shown]
	v_fmac_f64_e32 v[72:73], v[198:199], v[128:129]
	v_fmac_f64_e32 v[68:69], v[104:105], v[114:115]
	v_fma_f64 v[82:83], v[198:199], v[130:131], -v[24:25]
	v_mul_f64 v[24:25], v[106:107], v[114:115]
	v_fmac_f64_e32 v[62:63], v[136:137], v[252:253]
	v_add_f64 v[112:113], v[72:73], -v[68:69]
	v_fma_f64 v[80:81], v[104:105], v[116:117], -v[24:25]
	v_fmac_f64_e32 v[52:53], v[120:121], v[20:21]
	v_add_f64 v[110:111], v[62:63], -v[60:61]
	v_mul_f64 v[22:23], v[112:113], s[36:37]
	v_add_f64 v[86:87], v[82:83], v[80:81]
	v_add_f64 v[100:101], v[54:55], -v[52:53]
	v_mul_f64 v[20:21], v[110:111], s[28:29]
	v_add_f64 v[84:85], v[78:79], v[74:75]
	v_fma_f64 v[24:25], s[30:31], v[86:87], v[22:23]
	v_add_f64 v[124:125], v[82:83], -v[80:81]
	v_add_f64 v[96:97], v[46:47], -v[44:45]
	v_mul_f64 v[10:11], v[100:101], s[34:35]
	v_add_f64 v[88:89], v[70:71], v[64:65]
	v_fma_f64 v[6:7], s[4:5], v[84:85], v[20:21]
	v_add_f64 v[24:25], v[2:3], v[24:25]
	v_add_f64 v[122:123], v[78:79], -v[74:75]
	v_add_f64 v[106:107], v[72:73], v[68:69]
	v_mul_f64 v[134:135], v[124:125], s[36:37]
	v_fma_f64 v[42:43], v[108:109], v[26:27], -v[16:17]
	v_add_f64 v[108:109], v[36:37], -v[38:39]
	v_mul_f64 v[14:15], v[96:97], s[44:45]
	v_add_f64 v[92:93], v[58:59], v[56:57]
	v_fma_f64 v[4:5], s[24:25], v[88:89], v[10:11]
	v_add_f64 v[6:7], v[6:7], v[24:25]
	v_add_f64 v[120:121], v[70:71], -v[64:65]
	v_add_f64 v[104:105], v[62:63], v[60:61]
	v_mul_f64 v[128:129], v[122:123], s[28:29]
	v_fma_f64 v[140:141], v[106:107], s[30:31], -v[134:135]
	v_fma_f64 v[22:23], v[86:87], s[30:31], -v[22:23]
	v_add_f64 v[132:133], v[32:33], -v[34:35]
	v_mul_f64 v[18:19], v[108:109], s[26:27]
	v_add_f64 v[76:77], v[50:51], v[48:49]
	v_fma_f64 v[8:9], s[6:7], v[92:93], v[14:15]
	v_add_f64 v[4:5], v[4:5], v[6:7]
	v_add_f64 v[118:119], v[58:59], -v[56:57]
	v_add_f64 v[102:103], v[54:55], v[52:53]
	v_mul_f64 v[30:31], v[120:121], s[34:35]
	v_fma_f64 v[130:131], v[104:105], s[4:5], -v[128:129]
	v_add_f64 v[140:141], v[0:1], v[140:141]
	v_fma_f64 v[20:21], v[84:85], s[4:5], -v[20:21]
	v_add_f64 v[22:23], v[2:3], v[22:23]
	v_mul_f64 v[28:29], v[132:133], s[38:39]
	v_add_f64 v[66:67], v[40:41], v[42:43]
	v_fma_f64 v[12:13], s[20:21], v[76:77], v[18:19]
	v_add_f64 v[4:5], v[8:9], v[4:5]
	v_add_f64 v[116:117], v[50:51], -v[48:49]
	v_add_f64 v[98:99], v[46:47], v[44:45]
	v_mul_f64 v[24:25], v[118:119], s[44:45]
	v_fma_f64 v[126:127], v[102:103], s[24:25], -v[30:31]
	v_add_f64 v[130:131], v[130:131], v[140:141]
	v_fma_f64 v[10:11], v[88:89], s[24:25], -v[10:11]
	v_add_f64 v[20:21], v[20:21], v[22:23]
	v_fma_f64 v[16:17], s[16:17], v[66:67], v[28:29]
	v_add_f64 v[4:5], v[12:13], v[4:5]
	v_add_f64 v[114:115], v[40:41], -v[42:43]
	v_add_f64 v[94:95], v[36:37], v[38:39]
	v_mul_f64 v[12:13], v[116:117], s[26:27]
	v_fma_f64 v[26:27], v[98:99], s[6:7], -v[24:25]
	v_add_f64 v[126:127], v[126:127], v[130:131]
	v_fma_f64 v[14:15], v[92:93], s[6:7], -v[14:15]
	v_add_f64 v[10:11], v[10:11], v[20:21]
	v_fmac_f64_e32 v[134:135], s[30:31], v[106:107]
	v_add_f64 v[6:7], v[16:17], v[4:5]
	v_add_f64 v[90:91], v[32:33], v[34:35]
	v_mul_f64 v[8:9], v[114:115], s[38:39]
	v_fma_f64 v[16:17], v[94:95], s[20:21], -v[12:13]
	v_add_f64 v[26:27], v[26:27], v[126:127]
	v_add_f64 v[10:11], v[14:15], v[10:11]
	v_fmac_f64_e32 v[128:129], s[4:5], v[104:105]
	v_add_f64 v[14:15], v[0:1], v[134:135]
	v_fma_f64 v[4:5], v[90:91], s[16:17], -v[8:9]
	v_add_f64 v[16:17], v[16:17], v[26:27]
	v_fmac_f64_e32 v[30:31], s[24:25], v[102:103]
	v_add_f64 v[14:15], v[128:129], v[14:15]
	v_mul_f64 v[126:127], v[112:113], s[34:35]
	v_add_f64 v[4:5], v[4:5], v[16:17]
	v_fma_f64 v[16:17], v[66:67], s[16:17], -v[28:29]
	v_fmac_f64_e32 v[24:25], s[6:7], v[98:99]
	v_add_f64 v[14:15], v[30:31], v[14:15]
	v_mul_f64 v[28:29], v[110:111], s[38:39]
	v_fma_f64 v[128:129], s[24:25], v[86:87], v[126:127]
	v_mul_f64 v[154:155], v[124:125], s[34:35]
	v_add_f64 v[14:15], v[24:25], v[14:15]
	v_mul_f64 v[24:25], v[100:101], s[18:19]
	v_fma_f64 v[30:31], s[16:17], v[84:85], v[28:29]
	v_add_f64 v[128:129], v[2:3], v[128:129]
	v_mul_f64 v[142:143], v[122:123], s[38:39]
	v_fma_f64 v[172:173], v[106:107], s[24:25], -v[154:155]
	v_fma_f64 v[18:19], v[76:77], s[20:21], -v[18:19]
	v_mul_f64 v[20:21], v[96:97], s[46:47]
	v_fma_f64 v[26:27], s[6:7], v[88:89], v[24:25]
	v_add_f64 v[30:31], v[30:31], v[128:129]
	v_mul_f64 v[134:135], v[120:121], s[18:19]
	v_fma_f64 v[152:153], v[104:105], s[16:17], -v[142:143]
	v_add_f64 v[172:173], v[0:1], v[172:173]
	v_add_f64 v[10:11], v[18:19], v[10:11]
	v_fmac_f64_e32 v[12:13], s[20:21], v[94:95]
	v_mul_f64 v[18:19], v[108:109], s[28:29]
	v_fma_f64 v[22:23], s[30:31], v[92:93], v[20:21]
	v_add_f64 v[26:27], v[26:27], v[30:31]
	v_mul_f64 v[128:129], v[118:119], s[46:47]
	v_fma_f64 v[140:141], v[102:103], s[6:7], -v[134:135]
	v_add_f64 v[152:153], v[152:153], v[172:173]
	v_add_f64 v[10:11], v[16:17], v[10:11]
	v_fmac_f64_e32 v[8:9], s[16:17], v[90:91]
	v_add_f64 v[12:13], v[12:13], v[14:15]
	v_mul_f64 v[16:17], v[132:133], s[26:27]
	v_fma_f64 v[14:15], s[4:5], v[76:77], v[18:19]
	v_add_f64 v[22:23], v[22:23], v[26:27]
	v_mul_f64 v[26:27], v[116:117], s[28:29]
	v_fma_f64 v[130:131], v[98:99], s[30:31], -v[128:129]
	v_add_f64 v[140:141], v[140:141], v[152:153]
	v_add_f64 v[8:9], v[8:9], v[12:13]
	v_fma_f64 v[12:13], s[20:21], v[66:67], v[16:17]
	v_add_f64 v[14:15], v[14:15], v[22:23]
	v_mul_f64 v[22:23], v[114:115], s[26:27]
	v_fma_f64 v[30:31], v[94:95], s[4:5], -v[26:27]
	v_add_f64 v[130:131], v[130:131], v[140:141]
	v_add_f64 v[14:15], v[12:13], v[14:15]
	v_fma_f64 v[12:13], v[90:91], s[20:21], -v[22:23]
	v_add_f64 v[30:31], v[30:31], v[130:131]
	v_add_f64 v[12:13], v[12:13], v[30:31]
	v_fma_f64 v[30:31], v[86:87], s[24:25], -v[126:127]
	v_fma_f64 v[28:29], v[84:85], s[16:17], -v[28:29]
	v_add_f64 v[30:31], v[2:3], v[30:31]
	v_fma_f64 v[24:25], v[88:89], s[6:7], -v[24:25]
	v_add_f64 v[28:29], v[28:29], v[30:31]
	v_fma_f64 v[20:21], v[92:93], s[30:31], -v[20:21]
	v_add_f64 v[24:25], v[24:25], v[28:29]
	v_fma_f64 v[18:19], v[76:77], s[4:5], -v[18:19]
	v_add_f64 v[20:21], v[20:21], v[24:25]
	v_fma_f64 v[16:17], v[66:67], s[20:21], -v[16:17]
	v_add_f64 v[18:19], v[18:19], v[20:21]
	v_fmac_f64_e32 v[154:155], s[24:25], v[106:107]
	v_add_f64 v[18:19], v[16:17], v[18:19]
	v_fmac_f64_e32 v[142:143], s[16:17], v[104:105]
	v_add_f64 v[16:17], v[0:1], v[154:155]
	v_mul_f64 v[140:141], v[112:113], s[26:27]
	v_fmac_f64_e32 v[134:135], s[6:7], v[102:103]
	v_add_f64 v[16:17], v[142:143], v[16:17]
	v_mul_f64 v[130:131], v[110:111], s[40:41]
	v_fma_f64 v[142:143], s[20:21], v[86:87], v[140:141]
	v_mul_f64 v[178:179], v[124:125], s[26:27]
	v_fmac_f64_e32 v[128:129], s[30:31], v[98:99]
	v_add_f64 v[16:17], v[134:135], v[16:17]
	v_mul_f64 v[126:127], v[100:101], s[28:29]
	v_fma_f64 v[134:135], s[24:25], v[84:85], v[130:131]
	v_add_f64 v[142:143], v[2:3], v[142:143]
	v_mul_f64 v[174:175], v[122:123], s[40:41]
	v_fma_f64 v[180:181], v[106:107], s[20:21], -v[178:179]
	v_fmac_f64_e32 v[26:27], s[4:5], v[94:95]
	v_add_f64 v[16:17], v[128:129], v[16:17]
	v_mul_f64 v[28:29], v[96:97], s[22:23]
	v_fma_f64 v[128:129], s[4:5], v[88:89], v[126:127]
	v_add_f64 v[134:135], v[134:135], v[142:143]
	v_mul_f64 v[154:155], v[120:121], s[28:29]
	v_fma_f64 v[176:177], v[104:105], s[24:25], -v[174:175]
	v_add_f64 v[180:181], v[0:1], v[180:181]
	v_fmac_f64_e32 v[22:23], s[20:21], v[90:91]
	v_add_f64 v[16:17], v[26:27], v[16:17]
	v_mul_f64 v[26:27], v[108:109], s[46:47]
	v_fma_f64 v[30:31], s[16:17], v[92:93], v[28:29]
	v_add_f64 v[128:129], v[128:129], v[134:135]
	v_mul_f64 v[142:143], v[118:119], s[22:23]
	v_fma_f64 v[172:173], v[102:103], s[4:5], -v[154:155]
	v_add_f64 v[176:177], v[176:177], v[180:181]
	v_add_f64 v[16:17], v[22:23], v[16:17]
	v_mul_f64 v[24:25], v[132:133], s[44:45]
	v_fma_f64 v[22:23], s[30:31], v[76:77], v[26:27]
	v_add_f64 v[30:31], v[30:31], v[128:129]
	v_mul_f64 v[128:129], v[116:117], s[46:47]
	v_fma_f64 v[152:153], v[98:99], s[16:17], -v[142:143]
	v_add_f64 v[172:173], v[172:173], v[176:177]
	v_fma_f64 v[20:21], s[6:7], v[66:67], v[24:25]
	v_add_f64 v[22:23], v[22:23], v[30:31]
	v_mul_f64 v[30:31], v[114:115], s[44:45]
	v_fma_f64 v[134:135], v[94:95], s[30:31], -v[128:129]
	v_add_f64 v[152:153], v[152:153], v[172:173]
	v_add_f64 v[22:23], v[20:21], v[22:23]
	v_fma_f64 v[20:21], v[90:91], s[6:7], -v[30:31]
	v_add_f64 v[134:135], v[134:135], v[152:153]
	v_add_f64 v[20:21], v[20:21], v[134:135]
	v_fma_f64 v[134:135], v[86:87], s[20:21], -v[140:141]
	v_fma_f64 v[130:131], v[84:85], s[24:25], -v[130:131]
	v_add_f64 v[134:135], v[2:3], v[134:135]
	v_fma_f64 v[126:127], v[88:89], s[4:5], -v[126:127]
	v_add_f64 v[130:131], v[130:131], v[134:135]
	v_fma_f64 v[28:29], v[92:93], s[16:17], -v[28:29]
	v_add_f64 v[126:127], v[126:127], v[130:131]
	v_fma_f64 v[26:27], v[76:77], s[30:31], -v[26:27]
	v_add_f64 v[28:29], v[28:29], v[126:127]
	v_fma_f64 v[24:25], v[66:67], s[6:7], -v[24:25]
	v_add_f64 v[26:27], v[26:27], v[28:29]
	v_fmac_f64_e32 v[178:179], s[20:21], v[106:107]
	v_add_f64 v[26:27], v[24:25], v[26:27]
	v_fmac_f64_e32 v[174:175], s[24:25], v[104:105]
	v_add_f64 v[24:25], v[0:1], v[178:179]
	v_mul_f64 v[172:173], v[112:113], s[22:23]
	v_fmac_f64_e32 v[154:155], s[4:5], v[102:103]
	v_add_f64 v[24:25], v[174:175], v[24:25]
	v_mul_f64 v[152:153], v[110:111], s[36:37]
	v_fma_f64 v[174:175], s[16:17], v[86:87], v[172:173]
	v_mul_f64 v[186:187], v[124:125], s[22:23]
	v_fmac_f64_e32 v[142:143], s[16:17], v[98:99]
	v_add_f64 v[24:25], v[154:155], v[24:25]
	v_mul_f64 v[140:141], v[100:101], s[42:43]
	v_fma_f64 v[154:155], s[30:31], v[84:85], v[152:153]
	v_add_f64 v[174:175], v[2:3], v[174:175]
	v_mul_f64 v[182:183], v[122:123], s[36:37]
	v_fma_f64 v[188:189], v[106:107], s[16:17], -v[186:187]
	v_fmac_f64_e32 v[128:129], s[30:31], v[94:95]
	v_add_f64 v[24:25], v[142:143], v[24:25]
	v_mul_f64 v[130:131], v[96:97], s[28:29]
	v_fma_f64 v[142:143], s[20:21], v[88:89], v[140:141]
	v_add_f64 v[154:155], v[154:155], v[174:175]
	v_mul_f64 v[178:179], v[120:121], s[42:43]
	v_fma_f64 v[184:185], v[104:105], s[30:31], -v[182:183]
	v_add_f64 v[188:189], v[0:1], v[188:189]
	v_fmac_f64_e32 v[30:31], s[6:7], v[90:91]
	v_add_f64 v[24:25], v[128:129], v[24:25]
	v_mul_f64 v[128:129], v[108:109], s[18:19]
	v_fma_f64 v[134:135], s[4:5], v[92:93], v[130:131]
	v_add_f64 v[142:143], v[142:143], v[154:155]
	v_mul_f64 v[174:175], v[118:119], s[28:29]
	v_fma_f64 v[180:181], v[102:103], s[20:21], -v[178:179]
	v_add_f64 v[184:185], v[184:185], v[188:189]
	v_add_f64 v[24:25], v[30:31], v[24:25]
	v_mul_f64 v[126:127], v[132:133], s[34:35]
	v_fma_f64 v[30:31], s[6:7], v[76:77], v[128:129]
	v_add_f64 v[134:135], v[134:135], v[142:143]
	v_mul_f64 v[142:143], v[116:117], s[18:19]
	v_fma_f64 v[176:177], v[98:99], s[4:5], -v[174:175]
	v_add_f64 v[180:181], v[180:181], v[184:185]
	v_fma_f64 v[28:29], s[24:25], v[66:67], v[126:127]
	v_add_f64 v[30:31], v[30:31], v[134:135]
	v_mul_f64 v[134:135], v[114:115], s[34:35]
	v_fma_f64 v[154:155], v[94:95], s[6:7], -v[142:143]
	v_add_f64 v[176:177], v[176:177], v[180:181]
	v_add_f64 v[30:31], v[28:29], v[30:31]
	v_fma_f64 v[28:29], v[90:91], s[24:25], -v[134:135]
	v_add_f64 v[154:155], v[154:155], v[176:177]
	v_add_f64 v[28:29], v[28:29], v[154:155]
	v_fma_f64 v[154:155], v[86:87], s[16:17], -v[172:173]
	v_fma_f64 v[152:153], v[84:85], s[30:31], -v[152:153]
	v_add_f64 v[154:155], v[2:3], v[154:155]
	v_fma_f64 v[140:141], v[88:89], s[20:21], -v[140:141]
	v_add_f64 v[152:153], v[152:153], v[154:155]
	;; [unrolled: 2-line block ×5, first 2 shown]
	v_fmac_f64_e32 v[186:187], s[16:17], v[106:107]
	v_add_f64 v[128:129], v[126:127], v[128:129]
	v_fmac_f64_e32 v[182:183], s[30:31], v[104:105]
	v_add_f64 v[126:127], v[0:1], v[186:187]
	;; [unrolled: 2-line block ×3, first 2 shown]
	v_mul_f64 v[180:181], v[112:113], s[18:19]
	v_fmac_f64_e32 v[174:175], s[4:5], v[98:99]
	v_add_f64 v[126:127], v[178:179], v[126:127]
	v_mul_f64 v[176:177], v[110:111], s[26:27]
	v_fma_f64 v[182:183], s[6:7], v[86:87], v[180:181]
	v_add_f64 v[126:127], v[174:175], v[126:127]
	v_mul_f64 v[174:175], v[100:101], s[36:37]
	v_fma_f64 v[178:179], s[20:21], v[84:85], v[176:177]
	v_add_f64 v[182:183], v[2:3], v[182:183]
	v_mul_f64 v[194:195], v[124:125], s[18:19]
	v_mul_f64 v[172:173], v[96:97], s[40:41]
	v_fma_f64 v[154:155], s[30:31], v[88:89], v[174:175]
	v_add_f64 v[178:179], v[178:179], v[182:183]
	v_mul_f64 v[190:191], v[122:123], s[26:27]
	v_fma_f64 v[196:197], v[106:107], s[6:7], -v[194:195]
	v_fmac_f64_e32 v[142:143], s[6:7], v[94:95]
	v_mul_f64 v[140:141], v[108:109], s[38:39]
	v_fma_f64 v[152:153], s[24:25], v[92:93], v[172:173]
	v_add_f64 v[154:155], v[154:155], v[178:179]
	v_mul_f64 v[186:187], v[120:121], s[36:37]
	v_fma_f64 v[192:193], v[104:105], s[20:21], -v[190:191]
	v_add_f64 v[196:197], v[0:1], v[196:197]
	v_fmac_f64_e32 v[134:135], s[24:25], v[90:91]
	v_add_f64 v[126:127], v[142:143], v[126:127]
	v_mul_f64 v[130:131], v[132:133], s[28:29]
	v_fma_f64 v[142:143], s[16:17], v[76:77], v[140:141]
	v_add_f64 v[152:153], v[152:153], v[154:155]
	v_mul_f64 v[182:183], v[118:119], s[40:41]
	v_fma_f64 v[188:189], v[102:103], s[30:31], -v[186:187]
	v_add_f64 v[192:193], v[192:193], v[196:197]
	v_add_f64 v[126:127], v[134:135], v[126:127]
	v_fma_f64 v[134:135], s[4:5], v[66:67], v[130:131]
	v_add_f64 v[142:143], v[142:143], v[152:153]
	v_mul_f64 v[178:179], v[116:117], s[38:39]
	v_fma_f64 v[184:185], v[98:99], s[24:25], -v[182:183]
	v_add_f64 v[188:189], v[188:189], v[192:193]
	v_add_f64 v[154:155], v[134:135], v[142:143]
	v_mul_f64 v[134:135], v[114:115], s[28:29]
	v_fma_f64 v[152:153], v[94:95], s[16:17], -v[178:179]
	v_add_f64 v[184:185], v[184:185], v[188:189]
	v_fma_f64 v[142:143], v[90:91], s[4:5], -v[134:135]
	v_add_f64 v[152:153], v[152:153], v[184:185]
	v_add_f64 v[152:153], v[142:143], v[152:153]
	v_fma_f64 v[142:143], v[92:93], s[24:25], -v[172:173]
	v_fma_f64 v[172:173], v[88:89], s[30:31], -v[174:175]
	;; [unrolled: 1-line block ×4, first 2 shown]
	v_add_f64 v[176:177], v[2:3], v[176:177]
	v_add_f64 v[174:175], v[174:175], v[176:177]
	;; [unrolled: 1-line block ×3, first 2 shown]
	v_fma_f64 v[140:141], v[76:77], s[16:17], -v[140:141]
	v_add_f64 v[142:143], v[142:143], v[172:173]
	v_fma_f64 v[130:131], v[66:67], s[4:5], -v[130:131]
	v_add_f64 v[140:141], v[140:141], v[142:143]
	v_fmac_f64_e32 v[194:195], s[6:7], v[106:107]
	v_add_f64 v[254:255], v[130:131], v[140:141]
	v_fmac_f64_e32 v[190:191], s[20:21], v[104:105]
	;; [unrolled: 2-line block ×3, first 2 shown]
	v_add_f64 v[130:131], v[190:191], v[130:131]
	v_mul_f64 v[112:113], v[112:113], s[14:15]
	v_fmac_f64_e32 v[182:183], s[24:25], v[98:99]
	v_add_f64 v[130:131], v[186:187], v[130:131]
	v_mul_f64 v[172:173], v[110:111], s[18:19]
	v_fma_f64 v[174:175], s[4:5], v[86:87], v[112:113]
	v_fma_f64 v[86:87], v[86:87], s[4:5], -v[112:113]
	v_fmac_f64_e32 v[178:179], s[16:17], v[94:95]
	v_add_f64 v[130:131], v[182:183], v[130:131]
	v_mul_f64 v[100:101], v[100:101], s[22:23]
	v_fma_f64 v[110:111], s[6:7], v[84:85], v[172:173]
	v_fma_f64 v[84:85], v[84:85], s[6:7], -v[172:173]
	v_add_f64 v[86:87], v[2:3], v[86:87]
	v_fmac_f64_e32 v[134:135], s[4:5], v[90:91]
	v_add_f64 v[130:131], v[178:179], v[130:131]
	v_mul_f64 v[96:97], v[96:97], s[26:27]
	v_fma_f64 v[142:143], s[16:17], v[88:89], v[100:101]
	v_fma_f64 v[88:89], v[88:89], s[16:17], -v[100:101]
	v_add_f64 v[84:85], v[84:85], v[86:87]
	v_add_f64 v[252:253], v[134:135], v[130:131]
	v_mul_f64 v[134:135], v[108:109], s[34:35]
	v_fma_f64 v[140:141], s[20:21], v[92:93], v[96:97]
	v_fma_f64 v[92:93], v[92:93], s[20:21], -v[96:97]
	v_add_f64 v[84:85], v[88:89], v[84:85]
	v_mul_f64 v[130:131], v[132:133], s[36:37]
	v_fma_f64 v[108:109], s[24:25], v[76:77], v[134:135]
	v_mul_f64 v[124:125], v[124:125], s[14:15]
	v_fma_f64 v[76:77], v[76:77], s[24:25], -v[134:135]
	v_add_f64 v[84:85], v[92:93], v[84:85]
	v_fma_f64 v[132:133], s[30:31], v[66:67], v[130:131]
	v_fma_f64 v[176:177], v[106:107], s[4:5], -v[124:125]
	v_fma_f64 v[66:67], v[66:67], s[30:31], -v[130:131]
	v_add_f64 v[76:77], v[76:77], v[84:85]
	v_fmac_f64_e32 v[124:125], s[4:5], v[106:107]
	v_add_f64 v[174:175], v[2:3], v[174:175]
	v_add_f64 v[176:177], v[0:1], v[176:177]
	;; [unrolled: 1-line block ×17, first 2 shown]
	v_mul_f64 v[122:123], v[122:123], s[18:19]
	v_add_f64 v[2:3], v[2:3], v[42:43]
	v_add_f64 v[0:1], v[0:1], v[34:35]
	;; [unrolled: 1-line block ×3, first 2 shown]
	v_mul_f64 v[120:121], v[120:121], s[22:23]
	v_fma_f64 v[174:175], v[104:105], s[6:7], -v[122:123]
	v_fmac_f64_e32 v[122:123], s[6:7], v[104:105]
	v_add_f64 v[2:3], v[2:3], v[48:49]
	v_add_f64 v[0:1], v[0:1], v[38:39]
	v_add_f64 v[110:111], v[140:141], v[110:111]
	v_mul_f64 v[118:119], v[118:119], s[26:27]
	v_fma_f64 v[142:143], v[102:103], s[16:17], -v[120:121]
	v_add_f64 v[174:175], v[174:175], v[176:177]
	v_fmac_f64_e32 v[120:121], s[16:17], v[102:103]
	v_add_f64 v[66:67], v[122:123], v[66:67]
	v_add_f64 v[2:3], v[2:3], v[56:57]
	;; [unrolled: 1-line block ×3, first 2 shown]
	v_accvgpr_read_b32 v32, a116
	v_add_f64 v[108:109], v[108:109], v[110:111]
	v_mul_f64 v[116:117], v[116:117], s[34:35]
	v_fma_f64 v[140:141], v[98:99], s[20:21], -v[118:119]
	v_add_f64 v[142:143], v[142:143], v[174:175]
	v_fmac_f64_e32 v[118:119], s[20:21], v[98:99]
	v_add_f64 v[66:67], v[120:121], v[66:67]
	v_add_f64 v[2:3], v[2:3], v[64:65]
	;; [unrolled: 1-line block ×3, first 2 shown]
	v_mul_u32_u24_e32 v32, 52, v32
	v_accvgpr_read_b32 v33, a3
	v_add_f64 v[110:111], v[132:133], v[108:109]
	v_mul_f64 v[114:115], v[114:115], s[36:37]
	v_fma_f64 v[132:133], v[94:95], s[24:25], -v[116:117]
	v_add_f64 v[140:141], v[140:141], v[142:143]
	v_fmac_f64_e32 v[116:117], s[24:25], v[94:95]
	v_add_f64 v[66:67], v[118:119], v[66:67]
	v_add_f64 v[2:3], v[2:3], v[74:75]
	;; [unrolled: 1-line block ×3, first 2 shown]
	v_or_b32_e32 v32, v32, v33
	v_fma_f64 v[108:109], v[90:91], s[30:31], -v[114:115]
	v_add_f64 v[132:133], v[132:133], v[140:141]
	v_fmac_f64_e32 v[114:115], s[30:31], v[90:91]
	v_add_f64 v[66:67], v[116:117], v[66:67]
	v_add_f64 v[2:3], v[2:3], v[80:81]
	;; [unrolled: 1-line block ×3, first 2 shown]
	v_lshlrev_b32_e32 v32, 4, v32
	v_add_f64 v[108:109], v[108:109], v[132:133]
	v_add_f64 v[84:85], v[114:115], v[66:67]
	ds_write_b128 v32, v[0:3]
	ds_write_b128 v32, v[84:87] offset:64
	ds_write_b128 v32, v[252:255] offset:128
	;; [unrolled: 1-line block ×12, first 2 shown]
.LBB0_29:
	s_or_b64 exec, exec, s[48:49]
	s_waitcnt lgkmcnt(0)
	; wave barrier
	s_waitcnt lgkmcnt(0)
	ds_read_b128 v[4:7], v210 offset:4992
	ds_read_b128 v[8:11], v210 offset:5824
	;; [unrolled: 1-line block ×12, first 2 shown]
	s_waitcnt lgkmcnt(7)
	v_mul_f64 v[66:67], v[166:167], v[22:23]
	v_mul_f64 v[72:73], v[158:159], v[6:7]
	v_fmac_f64_e32 v[66:67], v[164:165], v[20:21]
	v_mul_f64 v[20:21], v[166:167], v[20:21]
	v_fmac_f64_e32 v[72:73], v[156:157], v[4:5]
	v_mul_f64 v[4:5], v[158:159], v[4:5]
	v_fma_f64 v[68:69], v[164:165], v[22:23], -v[20:21]
	s_waitcnt lgkmcnt(5)
	v_mul_f64 v[60:61], v[166:167], v[26:27]
	v_mul_f64 v[20:21], v[166:167], v[24:25]
	v_fma_f64 v[74:75], v[156:157], v[6:7], -v[4:5]
	s_waitcnt lgkmcnt(3)
	v_mul_f64 v[4:5], v[150:151], v[36:37]
	v_fmac_f64_e32 v[60:61], v[164:165], v[24:25]
	v_fma_f64 v[70:71], v[164:165], v[26:27], -v[20:21]
	ds_read_b128 v[20:23], v210 offset:12480
	ds_read_b128 v[24:27], v210 offset:11648
	v_fma_f64 v[78:79], v[148:149], v[38:39], -v[4:5]
	v_mul_f64 v[4:5], v[158:159], v[8:9]
	v_mul_f64 v[80:81], v[158:159], v[10:11]
	v_fma_f64 v[82:83], v[156:157], v[10:11], -v[4:5]
	s_waitcnt lgkmcnt(3)
	v_mul_f64 v[4:5], v[150:151], v[46:47]
	v_fmac_f64_e32 v[80:81], v[156:157], v[8:9]
	v_fma_f64 v[86:87], v[148:149], v[48:49], -v[4:5]
	ds_read_b128 v[4:7], v210 offset:13312
	ds_read_b128 v[8:11], v210 offset:14144
	v_mul_f64 v[88:89], v[146:147], v[14:15]
	v_fmac_f64_e32 v[88:89], v[144:145], v[12:13]
	v_mul_f64 v[12:13], v[146:147], v[12:13]
	v_fma_f64 v[90:91], v[144:145], v[14:15], -v[12:13]
	s_waitcnt lgkmcnt(3)
	v_mul_f64 v[92:93], v[170:171], v[22:23]
	v_mul_f64 v[12:13], v[170:171], v[20:21]
	v_fmac_f64_e32 v[92:93], v[168:169], v[20:21]
	v_fma_f64 v[20:21], v[168:169], v[22:23], -v[12:13]
	v_mul_f64 v[12:13], v[146:147], v[16:17]
	v_fma_f64 v[96:97], v[144:145], v[18:19], -v[12:13]
	s_waitcnt lgkmcnt(1)
	v_mul_f64 v[98:99], v[170:171], v[6:7]
	ds_read_b128 v[12:15], v210 offset:14976
	v_fmac_f64_e32 v[98:99], v[168:169], v[4:5]
	v_mul_f64 v[4:5], v[170:171], v[4:5]
	v_fma_f64 v[100:101], v[168:169], v[6:7], -v[4:5]
	ds_read_b128 v[4:7], v210 offset:15808
	v_mul_f64 v[94:95], v[146:147], v[18:19]
	v_fmac_f64_e32 v[94:95], v[144:145], v[16:17]
	s_waitcnt lgkmcnt(1)
	v_mul_f64 v[16:17], v[162:163], v[14:15]
	v_fmac_f64_e32 v[16:17], v[160:161], v[12:13]
	v_mul_f64 v[12:13], v[162:163], v[12:13]
	v_fma_f64 v[18:19], v[160:161], v[14:15], -v[12:13]
	s_waitcnt lgkmcnt(0)
	v_mul_f64 v[102:103], v[162:163], v[6:7]
	v_accvgpr_read_b32 v12, a150
	v_mul_f64 v[76:77], v[150:151], v[38:39]
	v_fmac_f64_e32 v[102:103], v[160:161], v[4:5]
	v_mul_f64 v[4:5], v[162:163], v[4:5]
	v_accvgpr_read_b32 v14, a152
	v_accvgpr_read_b32 v15, a153
	v_fmac_f64_e32 v[76:77], v[148:149], v[36:37]
	v_fma_f64 v[104:105], v[160:161], v[6:7], -v[4:5]
	v_accvgpr_read_b32 v13, a151
	v_mul_f64 v[36:37], v[14:15], v[30:31]
	v_mul_f64 v[4:5], v[14:15], v[28:29]
	v_fmac_f64_e32 v[36:37], v[12:13], v[28:29]
	v_fma_f64 v[38:39], v[12:13], v[30:31], -v[4:5]
	v_accvgpr_read_b32 v28, a142
	v_accvgpr_read_b32 v30, a144
	;; [unrolled: 1-line block ×4, first 2 shown]
	v_mul_f64 v[40:41], v[30:31], v[44:45]
	v_mul_f64 v[12:13], v[30:31], v[42:43]
	v_fmac_f64_e32 v[40:41], v[28:29], v[42:43]
	v_fma_f64 v[44:45], v[28:29], v[44:45], -v[12:13]
	v_accvgpr_read_b32 v28, a138
	v_accvgpr_read_b32 v30, a140
	;; [unrolled: 1-line block ×3, first 2 shown]
	v_mul_f64 v[84:85], v[150:151], v[48:49]
	v_accvgpr_read_b32 v29, a139
	v_mul_f64 v[42:43], v[30:31], v[52:53]
	v_mul_f64 v[22:23], v[30:31], v[50:51]
	v_fmac_f64_e32 v[84:85], v[148:149], v[46:47]
	v_fmac_f64_e32 v[42:43], v[28:29], v[50:51]
	v_fma_f64 v[46:47], v[28:29], v[52:53], -v[22:23]
	v_accvgpr_read_b32 v28, a134
	v_accvgpr_read_b32 v30, a136
	;; [unrolled: 1-line block ×4, first 2 shown]
	v_mul_f64 v[48:49], v[30:31], v[26:27]
	v_mul_f64 v[22:23], v[30:31], v[24:25]
	v_fmac_f64_e32 v[48:49], v[28:29], v[24:25]
	v_fma_f64 v[50:51], v[28:29], v[26:27], -v[22:23]
	v_accvgpr_read_b32 v22, a154
	ds_read_b128 v[4:7], v210
	ds_read_b128 v[62:65], v210 offset:832
	ds_read_b128 v[12:15], v210 offset:16640
	v_accvgpr_read_b32 v24, a156
	v_accvgpr_read_b32 v25, a157
	;; [unrolled: 1-line block ×3, first 2 shown]
	v_mul_f64 v[52:53], v[24:25], v[10:11]
	v_fmac_f64_e32 v[52:53], v[22:23], v[8:9]
	v_mul_f64 v[8:9], v[24:25], v[8:9]
	v_fma_f64 v[54:55], v[22:23], v[10:11], -v[8:9]
	v_accvgpr_read_b32 v22, a146
	v_accvgpr_read_b32 v24, a148
	;; [unrolled: 1-line block ×4, first 2 shown]
	s_waitcnt lgkmcnt(0)
	v_mul_f64 v[56:57], v[24:25], v[14:15]
	v_mul_f64 v[8:9], v[24:25], v[12:13]
	v_fmac_f64_e32 v[56:57], v[22:23], v[12:13]
	v_fma_f64 v[58:59], v[22:23], v[14:15], -v[8:9]
	v_add_f64 v[8:9], v[66:67], v[16:17]
	v_add_f64 v[12:13], v[66:67], -v[16:17]
	v_add_f64 v[16:17], v[72:73], v[92:93]
	v_accvgpr_read_b32 v140, a48
	v_add_f64 v[10:11], v[68:69], v[18:19]
	v_add_f64 v[14:15], v[68:69], -v[18:19]
	v_add_f64 v[18:19], v[74:75], v[20:21]
	v_add_f64 v[24:25], v[76:77], v[88:89]
	;; [unrolled: 1-line block ×3, first 2 shown]
	v_mad_u64_u32 v[32:33], s[2:3], s10, v140, 0
	v_add_f64 v[22:23], v[72:73], -v[92:93]
	v_add_f64 v[26:27], v[78:79], v[90:91]
	v_add_f64 v[68:69], v[18:19], v[10:11]
	v_add_f64 v[72:73], v[16:17], -v[8:9]
	v_add_f64 v[8:9], v[8:9], -v[24:25]
	;; [unrolled: 1-line block ×3, first 2 shown]
	v_add_f64 v[24:25], v[24:25], v[66:67]
	v_add_f64 v[20:21], v[74:75], -v[20:21]
	v_add_f64 v[28:29], v[88:89], -v[76:77]
	;; [unrolled: 1-line block ×6, first 2 shown]
	v_add_f64 v[26:27], v[26:27], v[68:69]
	v_add_f64 v[4:5], v[4:5], v[24:25]
	s_mov_b32 s4, 0x37e14327
	s_mov_b32 s2, 0x36b3c0b5
	;; [unrolled: 1-line block ×5, first 2 shown]
	v_add_f64 v[76:77], v[28:29], v[22:23]
	v_add_f64 v[78:79], v[30:31], v[20:21]
	v_add_f64 v[88:89], v[28:29], -v[22:23]
	v_add_f64 v[90:91], v[30:31], -v[20:21]
	;; [unrolled: 1-line block ×3, first 2 shown]
	v_add_f64 v[6:7], v[6:7], v[26:27]
	s_mov_b32 s5, 0x3fe948f6
	s_mov_b32 s3, 0x3fac98ee
	;; [unrolled: 1-line block ×5, first 2 shown]
	v_pk_mov_b32 v[92:93], v[4:5], v[4:5] op_sel:[0,1]
	s_mov_b32 s18, 0x5476071b
	s_mov_b32 s22, 0xb247c609
	v_add_f64 v[28:29], v[12:13], -v[28:29]
	v_add_f64 v[30:31], v[14:15], -v[30:31]
	;; [unrolled: 1-line block ×3, first 2 shown]
	v_add_f64 v[12:13], v[76:77], v[12:13]
	v_add_f64 v[14:15], v[78:79], v[14:15]
	v_mul_f64 v[8:9], v[8:9], s[4:5]
	v_mul_f64 v[10:11], v[10:11], s[4:5]
	;; [unrolled: 1-line block ×7, first 2 shown]
	v_fmac_f64_e32 v[92:93], s[16:17], v[24:25]
	v_pk_mov_b32 v[24:25], v[6:7], v[6:7] op_sel:[0,1]
	s_mov_b32 s19, 0x3fe77f67
	s_mov_b32 s21, 0xbfe77f67
	;; [unrolled: 1-line block ×7, first 2 shown]
	v_mul_f64 v[90:91], v[20:21], s[6:7]
	v_fmac_f64_e32 v[24:25], s[16:17], v[26:27]
	v_fma_f64 v[26:27], v[72:73], s[18:19], -v[66:67]
	v_fma_f64 v[66:67], v[74:75], s[18:19], -v[68:69]
	;; [unrolled: 1-line block ×3, first 2 shown]
	v_fmac_f64_e32 v[8:9], s[2:3], v[16:17]
	v_fma_f64 v[16:17], v[74:75], s[20:21], -v[10:11]
	v_fma_f64 v[22:23], v[22:23], s[6:7], -v[76:77]
	v_fmac_f64_e32 v[76:77], s[22:23], v[28:29]
	v_fma_f64 v[20:21], v[20:21], s[6:7], -v[78:79]
	v_fmac_f64_e32 v[78:79], s[22:23], v[30:31]
	v_fma_f64 v[28:29], v[28:29], s[26:27], -v[88:89]
	s_mov_b32 s25, 0xbfdc38aa
	v_fmac_f64_e32 v[10:11], s[2:3], v[18:19]
	v_fma_f64 v[30:31], v[30:31], s[26:27], -v[90:91]
	v_add_f64 v[72:73], v[8:9], v[92:93]
	v_add_f64 v[26:27], v[26:27], v[92:93]
	;; [unrolled: 1-line block ×4, first 2 shown]
	v_fmac_f64_e32 v[78:79], s[24:25], v[14:15]
	v_fmac_f64_e32 v[22:23], s[24:25], v[12:13]
	;; [unrolled: 1-line block ×4, first 2 shown]
	v_add_f64 v[74:75], v[10:11], v[24:25]
	v_add_f64 v[68:69], v[68:69], v[92:93]
	v_fmac_f64_e32 v[76:77], s[24:25], v[12:13]
	v_fmac_f64_e32 v[30:31], s[24:25], v[14:15]
	v_add_f64 v[8:9], v[78:79], v[72:73]
	v_add_f64 v[14:15], v[88:89], -v[28:29]
	v_add_f64 v[16:17], v[26:27], -v[20:21]
	v_add_f64 v[18:19], v[22:23], v[66:67]
	v_add_f64 v[20:21], v[20:21], v[26:27]
	v_add_f64 v[22:23], v[66:67], -v[22:23]
	v_add_f64 v[26:27], v[28:29], v[88:89]
	v_add_f64 v[28:29], v[72:73], -v[78:79]
	v_add_f64 v[66:67], v[60:61], v[102:103]
	v_add_f64 v[72:73], v[80:81], v[98:99]
	v_add_f64 v[10:11], v[74:75], -v[76:77]
	v_add_f64 v[12:13], v[30:31], v[68:69]
	v_add_f64 v[24:25], v[68:69], -v[30:31]
	v_add_f64 v[30:31], v[76:77], v[74:75]
	v_add_f64 v[68:69], v[70:71], v[104:105]
	;; [unrolled: 1-line block ×3, first 2 shown]
	v_add_f64 v[76:77], v[80:81], -v[98:99]
	v_add_f64 v[80:81], v[84:85], v[94:95]
	v_add_f64 v[84:85], v[94:95], -v[84:85]
	v_add_f64 v[88:89], v[72:73], v[66:67]
	v_add_f64 v[60:61], v[60:61], -v[102:103]
	v_add_f64 v[78:79], v[82:83], -v[100:101]
	v_add_f64 v[82:83], v[86:87], v[96:97]
	v_add_f64 v[86:87], v[96:97], -v[86:87]
	v_add_f64 v[90:91], v[74:75], v[68:69]
	v_add_f64 v[92:93], v[72:73], -v[66:67]
	v_add_f64 v[66:67], v[66:67], -v[80:81]
	;; [unrolled: 1-line block ×3, first 2 shown]
	v_add_f64 v[96:97], v[84:85], v[76:77]
	v_add_f64 v[80:81], v[80:81], v[88:89]
	v_add_f64 v[70:71], v[70:71], -v[104:105]
	v_add_f64 v[94:95], v[74:75], -v[68:69]
	;; [unrolled: 1-line block ×7, first 2 shown]
	v_add_f64 v[82:83], v[82:83], v[90:91]
	v_add_f64 v[88:89], v[96:97], v[60:61]
	;; [unrolled: 1-line block ×4, first 2 shown]
	v_add_f64 v[102:103], v[86:87], -v[78:79]
	v_add_f64 v[78:79], v[78:79], -v[70:71]
	v_add_f64 v[62:63], v[64:65], v[82:83]
	v_pk_mov_b32 v[104:105], v[60:61], v[60:61] op_sel:[0,1]
	v_add_f64 v[86:87], v[70:71], -v[86:87]
	v_add_f64 v[70:71], v[98:99], v[70:71]
	v_mul_f64 v[64:65], v[66:67], s[4:5]
	v_mul_f64 v[66:67], v[68:69], s[4:5]
	;; [unrolled: 1-line block ×8, first 2 shown]
	v_fmac_f64_e32 v[104:105], s[16:17], v[80:81]
	v_pk_mov_b32 v[80:81], v[62:63], v[62:63] op_sel:[0,1]
	v_fmac_f64_e32 v[80:81], s[16:17], v[82:83]
	v_fma_f64 v[68:69], v[92:93], s[18:19], -v[68:69]
	v_fma_f64 v[82:83], v[94:95], s[18:19], -v[90:91]
	;; [unrolled: 1-line block ×4, first 2 shown]
	v_fmac_f64_e32 v[96:97], s[22:23], v[84:85]
	v_fma_f64 v[76:77], v[78:79], s[6:7], -v[98:99]
	v_fmac_f64_e32 v[98:99], s[22:23], v[86:87]
	v_fma_f64 v[84:85], v[84:85], s[26:27], -v[100:101]
	v_fma_f64 v[86:87], v[86:87], s[26:27], -v[102:103]
	v_fmac_f64_e32 v[64:65], s[2:3], v[72:73]
	v_fma_f64 v[72:73], v[94:95], s[20:21], -v[66:67]
	v_fmac_f64_e32 v[66:67], s[2:3], v[74:75]
	v_add_f64 v[90:91], v[90:91], v[104:105]
	v_fmac_f64_e32 v[96:97], s[24:25], v[88:89]
	v_fmac_f64_e32 v[92:93], s[24:25], v[88:89]
	;; [unrolled: 1-line block ×4, first 2 shown]
	v_add_f64 v[88:89], v[36:37], v[56:57]
	v_add_f64 v[36:37], v[36:37], -v[56:57]
	v_add_f64 v[56:57], v[40:41], v[52:53]
	v_add_f64 v[100:101], v[66:67], v[80:81]
	;; [unrolled: 1-line block ×6, first 2 shown]
	v_add_f64 v[80:81], v[90:91], -v[86:87]
	v_add_f64 v[90:91], v[38:39], v[58:59]
	v_add_f64 v[38:39], v[38:39], -v[58:59]
	v_add_f64 v[58:59], v[44:45], v[54:55]
	v_add_f64 v[40:41], v[40:41], -v[52:53]
	v_add_f64 v[52:53], v[42:43], v[48:49]
	v_add_f64 v[42:43], v[48:49], -v[42:43]
	v_add_f64 v[48:49], v[56:57], v[88:89]
	v_add_f64 v[44:45], v[44:45], -v[54:55]
	v_add_f64 v[54:55], v[46:47], v[50:51]
	v_add_f64 v[46:47], v[50:51], -v[46:47]
	v_add_f64 v[50:51], v[58:59], v[90:91]
	v_add_f64 v[48:49], v[52:53], v[48:49]
	v_add_f64 v[94:95], v[64:65], v[104:105]
	v_fmac_f64_e32 v[98:99], s[24:25], v[70:71]
	v_fmac_f64_e32 v[76:77], s[24:25], v[70:71]
	v_add_f64 v[50:51], v[54:55], v[50:51]
	v_add_f64 v[0:1], v[0:1], v[48:49]
	;; [unrolled: 1-line block ×3, first 2 shown]
	v_add_f64 v[66:67], v[100:101], -v[96:97]
	v_add_f64 v[70:71], v[102:103], -v[84:85]
	;; [unrolled: 1-line block ×3, first 2 shown]
	v_add_f64 v[74:75], v[92:93], v[82:83]
	v_add_f64 v[76:77], v[76:77], v[78:79]
	v_add_f64 v[78:79], v[82:83], -v[92:93]
	v_add_f64 v[82:83], v[84:85], v[102:103]
	v_add_f64 v[84:85], v[94:95], -v[98:99]
	;; [unrolled: 2-line block ×3, first 2 shown]
	v_add_f64 v[94:95], v[58:59], -v[90:91]
	v_add_f64 v[88:89], v[88:89], -v[52:53]
	;; [unrolled: 1-line block ×5, first 2 shown]
	v_add_f64 v[96:97], v[42:43], v[40:41]
	v_add_f64 v[98:99], v[46:47], v[44:45]
	v_add_f64 v[100:101], v[42:43], -v[40:41]
	v_add_f64 v[102:103], v[46:47], -v[44:45]
	;; [unrolled: 1-line block ×4, first 2 shown]
	v_add_f64 v[2:3], v[2:3], v[50:51]
	v_pk_mov_b32 v[104:105], v[0:1], v[0:1] op_sel:[0,1]
	v_add_f64 v[42:43], v[36:37], -v[42:43]
	v_add_f64 v[46:47], v[38:39], -v[46:47]
	v_add_f64 v[36:37], v[96:97], v[36:37]
	v_add_f64 v[38:39], v[98:99], v[38:39]
	v_mul_f64 v[52:53], v[88:89], s[4:5]
	v_mul_f64 v[54:55], v[90:91], s[4:5]
	;; [unrolled: 1-line block ×8, first 2 shown]
	v_fmac_f64_e32 v[104:105], s[16:17], v[48:49]
	v_pk_mov_b32 v[48:49], v[2:3], v[2:3] op_sel:[0,1]
	v_fmac_f64_e32 v[48:49], s[16:17], v[50:51]
	v_fma_f64 v[50:51], s[2:3], v[56:57], v[52:53]
	v_fma_f64 v[56:57], v[92:93], s[18:19], -v[88:89]
	v_fma_f64 v[88:89], v[94:95], s[18:19], -v[90:91]
	;; [unrolled: 1-line block ×4, first 2 shown]
	v_fmac_f64_e32 v[54:55], s[2:3], v[58:59]
	v_fma_f64 v[58:59], s[22:23], v[42:43], v[96:97]
	v_fma_f64 v[92:93], v[40:41], s[6:7], -v[96:97]
	v_fma_f64 v[94:95], v[44:45], s[6:7], -v[98:99]
	v_fmac_f64_e32 v[98:99], s[22:23], v[46:47]
	v_fma_f64 v[96:97], v[42:43], s[26:27], -v[100:101]
	v_fma_f64 v[100:101], v[46:47], s[26:27], -v[102:103]
	v_add_f64 v[102:103], v[50:51], v[104:105]
	v_add_f64 v[106:107], v[54:55], v[48:49]
	;; [unrolled: 1-line block ×6, first 2 shown]
	v_fmac_f64_e32 v[58:59], s[24:25], v[36:37]
	v_fmac_f64_e32 v[98:99], s[24:25], v[38:39]
	;; [unrolled: 1-line block ×6, first 2 shown]
	v_add_f64 v[36:37], v[98:99], v[102:103]
	v_add_f64 v[38:39], v[106:107], -v[58:59]
	v_add_f64 v[40:41], v[100:101], v[52:53]
	v_add_f64 v[42:43], v[56:57], -v[96:97]
	v_add_f64 v[44:45], v[50:51], -v[94:95]
	v_add_f64 v[46:47], v[92:93], v[54:55]
	v_add_f64 v[48:49], v[94:95], v[50:51]
	v_add_f64 v[50:51], v[54:55], -v[92:93]
	v_add_f64 v[52:53], v[52:53], -v[100:101]
	v_add_f64 v[54:55], v[96:97], v[56:57]
	v_add_f64 v[56:57], v[102:103], -v[98:99]
	v_add_f64 v[58:59], v[58:59], v[106:107]
	v_accvgpr_read_b32 v90, a158
	s_waitcnt lgkmcnt(0)
	; wave barrier
	ds_write_b128 v210, v[4:7]
	ds_write_b128 v210, v[8:11] offset:832
	ds_write_b128 v210, v[12:15] offset:1664
	ds_write_b128 v210, v[16:19] offset:2496
	ds_write_b128 v210, v[20:23] offset:3328
	ds_write_b128 v210, v[24:27] offset:4160
	ds_write_b128 v210, v[28:31] offset:4992
	ds_write_b128 v210, v[60:63] offset:5824
	ds_write_b128 v210, v[64:67] offset:6656
	ds_write_b128 v210, v[68:71] offset:7488
	ds_write_b128 v210, v[72:75] offset:8320
	ds_write_b128 v210, v[76:79] offset:9152
	ds_write_b128 v210, v[80:83] offset:9984
	ds_write_b128 v210, v[84:87] offset:10816
	ds_write_b128 v202, v[0:3] offset:11648
	ds_write_b128 v202, v[36:39] offset:12480
	ds_write_b128 v202, v[40:43] offset:13312
	ds_write_b128 v202, v[44:47] offset:14144
	ds_write_b128 v202, v[48:51] offset:14976
	ds_write_b128 v202, v[52:55] offset:15808
	ds_write_b128 v202, v[56:59] offset:16640
	s_waitcnt lgkmcnt(0)
	; wave barrier
	s_waitcnt lgkmcnt(0)
	ds_read_b128 v[0:3], v210
	ds_read_b128 v[4:7], v210 offset:832
	ds_read_b128 v[28:31], v210 offset:11648
	;; [unrolled: 1-line block ×20, first 2 shown]
	v_accvgpr_read_b32 v92, a160
	v_accvgpr_read_b32 v93, a161
	;; [unrolled: 1-line block ×3, first 2 shown]
	s_waitcnt lgkmcnt(4)
	v_mul_f64 v[88:89], v[92:93], v[74:75]
	v_fmac_f64_e32 v[88:89], v[90:91], v[72:73]
	v_mul_f64 v[72:73], v[92:93], v[72:73]
	v_fma_f64 v[72:73], v[90:91], v[74:75], -v[72:73]
	v_accvgpr_read_b32 v90, a162
	v_accvgpr_read_b32 v92, a164
	;; [unrolled: 1-line block ×4, first 2 shown]
	v_mul_f64 v[74:75], v[92:93], v[30:31]
	v_fmac_f64_e32 v[74:75], v[90:91], v[28:29]
	v_mul_f64 v[28:29], v[92:93], v[28:29]
	v_fma_f64 v[90:91], v[90:91], v[30:31], -v[28:29]
	v_mul_f64 v[92:93], v[206:207], v[42:43]
	v_mul_f64 v[28:29], v[206:207], v[40:41]
	v_fmac_f64_e32 v[92:93], v[204:205], v[40:41]
	v_fma_f64 v[94:95], v[204:205], v[42:43], -v[28:29]
	v_accvgpr_read_b32 v40, a166
	v_accvgpr_read_b32 v42, a168
	;; [unrolled: 1-line block ×4, first 2 shown]
	v_mul_f64 v[28:29], v[42:43], v[36:37]
	v_fma_f64 v[98:99], v[40:41], v[38:39], -v[28:29]
	v_mul_f64 v[28:29], v[214:215], v[44:45]
	v_fma_f64 v[102:103], v[212:213], v[46:47], -v[28:29]
	;; [unrolled: 2-line block ×7, first 2 shown]
	s_waitcnt lgkmcnt(2)
	v_mul_f64 v[28:29], v[238:239], v[76:77]
	v_mul_f64 v[124:125], v[238:239], v[78:79]
	v_fma_f64 v[78:79], v[236:237], v[78:79], -v[28:29]
	v_mul_f64 v[28:29], v[242:243], v[68:69]
	v_fma_f64 v[128:129], v[240:241], v[70:71], -v[28:29]
	s_waitcnt lgkmcnt(1)
	v_mul_f64 v[28:29], v[246:247], v[80:81]
	v_mul_f64 v[96:97], v[42:43], v[38:39]
	v_fma_f64 v[132:133], v[244:245], v[82:83], -v[28:29]
	s_waitcnt lgkmcnt(0)
	v_mul_f64 v[28:29], v[250:251], v[84:85]
	v_add_f64 v[30:31], v[88:89], v[74:75]
	s_mov_b32 s2, 0xe8584caa
	v_fmac_f64_e32 v[96:97], v[40:41], v[36:37]
	v_mul_f64 v[134:135], v[250:251], v[86:87]
	v_fma_f64 v[86:87], v[248:249], v[86:87], -v[28:29]
	v_add_f64 v[28:29], v[0:1], v[88:89]
	v_fmac_f64_e32 v[0:1], -0.5, v[30:31]
	v_add_f64 v[30:31], v[72:73], -v[90:91]
	s_mov_b32 s3, 0xbfebb67a
	s_mov_b32 s5, 0x3febb67a
	;; [unrolled: 1-line block ×3, first 2 shown]
	v_add_f64 v[38:39], v[72:73], v[90:91]
	v_mul_f64 v[100:101], v[214:215], v[46:47]
	v_mul_f64 v[104:105], v[218:219], v[50:51]
	v_fma_f64 v[36:37], s[2:3], v[30:31], v[0:1]
	v_fmac_f64_e32 v[0:1], s[4:5], v[30:31]
	v_add_f64 v[30:31], v[2:3], v[72:73]
	v_fmac_f64_e32 v[2:3], -0.5, v[38:39]
	v_add_f64 v[40:41], v[88:89], -v[74:75]
	v_add_f64 v[42:43], v[92:93], v[96:97]
	v_fmac_f64_e32 v[100:101], v[212:213], v[44:45]
	v_fmac_f64_e32 v[104:105], v[216:217], v[48:49]
	v_fma_f64 v[38:39], s[4:5], v[40:41], v[2:3]
	v_fmac_f64_e32 v[2:3], s[2:3], v[40:41]
	v_add_f64 v[40:41], v[4:5], v[92:93]
	v_fmac_f64_e32 v[4:5], -0.5, v[42:43]
	v_add_f64 v[42:43], v[94:95], -v[98:99]
	v_add_f64 v[46:47], v[94:95], v[98:99]
	v_mul_f64 v[108:109], v[222:223], v[58:59]
	v_mul_f64 v[112:113], v[226:227], v[54:55]
	v_fma_f64 v[44:45], s[2:3], v[42:43], v[4:5]
	v_fmac_f64_e32 v[4:5], s[4:5], v[42:43]
	v_add_f64 v[42:43], v[6:7], v[94:95]
	v_fmac_f64_e32 v[6:7], -0.5, v[46:47]
	v_add_f64 v[48:49], v[92:93], -v[96:97]
	v_add_f64 v[50:51], v[100:101], v[104:105]
	v_fmac_f64_e32 v[108:109], v[220:221], v[56:57]
	v_fmac_f64_e32 v[112:113], v[224:225], v[52:53]
	v_fma_f64 v[46:47], s[4:5], v[48:49], v[6:7]
	v_fmac_f64_e32 v[6:7], s[2:3], v[48:49]
	v_add_f64 v[48:49], v[8:9], v[100:101]
	v_fmac_f64_e32 v[8:9], -0.5, v[50:51]
	v_add_f64 v[50:51], v[102:103], -v[106:107]
	;; [unrolled: 16-line block ×3, first 2 shown]
	v_add_f64 v[62:63], v[110:111], v[114:115]
	v_mul_f64 v[126:127], v[242:243], v[70:71]
	v_fma_f64 v[60:61], s[2:3], v[58:59], v[12:13]
	v_fmac_f64_e32 v[12:13], s[4:5], v[58:59]
	v_add_f64 v[58:59], v[14:15], v[110:111]
	v_fmac_f64_e32 v[14:15], -0.5, v[62:63]
	v_add_f64 v[64:65], v[108:109], -v[112:113]
	v_add_f64 v[66:67], v[116:117], v[120:121]
	v_fmac_f64_e32 v[124:125], v[236:237], v[76:77]
	v_fmac_f64_e32 v[126:127], v[240:241], v[68:69]
	v_fma_f64 v[62:63], s[4:5], v[64:65], v[14:15]
	v_fmac_f64_e32 v[14:15], s[2:3], v[64:65]
	v_add_f64 v[64:65], v[16:17], v[116:117]
	v_fmac_f64_e32 v[16:17], -0.5, v[66:67]
	v_add_f64 v[66:67], v[118:119], -v[122:123]
	v_add_f64 v[70:71], v[118:119], v[122:123]
	v_add_f64 v[28:29], v[28:29], v[74:75]
	v_fma_f64 v[68:69], s[2:3], v[66:67], v[16:17]
	v_fmac_f64_e32 v[16:17], s[4:5], v[66:67]
	v_add_f64 v[66:67], v[18:19], v[118:119]
	v_fmac_f64_e32 v[18:19], -0.5, v[70:71]
	v_add_f64 v[72:73], v[116:117], -v[120:121]
	v_add_f64 v[74:75], v[124:125], v[126:127]
	v_mul_f64 v[130:131], v[246:247], v[82:83]
	v_fma_f64 v[70:71], s[4:5], v[72:73], v[18:19]
	v_fmac_f64_e32 v[18:19], s[2:3], v[72:73]
	v_add_f64 v[72:73], v[20:21], v[124:125]
	v_fmac_f64_e32 v[20:21], -0.5, v[74:75]
	v_add_f64 v[74:75], v[78:79], -v[128:129]
	v_fmac_f64_e32 v[130:131], v[244:245], v[80:81]
	v_fmac_f64_e32 v[134:135], v[248:249], v[84:85]
	v_fma_f64 v[76:77], s[2:3], v[74:75], v[20:21]
	v_fmac_f64_e32 v[20:21], s[4:5], v[74:75]
	v_add_f64 v[74:75], v[22:23], v[78:79]
	v_add_f64 v[78:79], v[78:79], v[128:129]
	v_fmac_f64_e32 v[22:23], -0.5, v[78:79]
	v_add_f64 v[80:81], v[124:125], -v[126:127]
	v_add_f64 v[82:83], v[130:131], v[134:135]
	v_fma_f64 v[78:79], s[4:5], v[80:81], v[22:23]
	v_fmac_f64_e32 v[22:23], s[2:3], v[80:81]
	v_add_f64 v[80:81], v[24:25], v[130:131]
	v_fmac_f64_e32 v[24:25], -0.5, v[82:83]
	v_add_f64 v[82:83], v[132:133], -v[86:87]
	v_fma_f64 v[84:85], s[2:3], v[82:83], v[24:25]
	v_fmac_f64_e32 v[24:25], s[4:5], v[82:83]
	v_add_f64 v[82:83], v[26:27], v[132:133]
	v_add_f64 v[82:83], v[82:83], v[86:87]
	;; [unrolled: 1-line block ×4, first 2 shown]
	v_fmac_f64_e32 v[26:27], -0.5, v[86:87]
	v_add_f64 v[88:89], v[130:131], -v[134:135]
	v_add_f64 v[40:41], v[40:41], v[96:97]
	v_add_f64 v[42:43], v[42:43], v[98:99]
	;; [unrolled: 1-line block ×11, first 2 shown]
	v_fma_f64 v[86:87], s[4:5], v[88:89], v[26:27]
	v_fmac_f64_e32 v[26:27], s[2:3], v[88:89]
	ds_write_b128 v210, v[28:31]
	ds_write_b128 v210, v[36:39] offset:5824
	ds_write_b128 v210, v[0:3] offset:11648
	ds_write_b128 v210, v[40:43] offset:832
	ds_write_b128 v210, v[44:47] offset:6656
	ds_write_b128 v210, v[4:7] offset:12480
	ds_write_b128 v210, v[48:51] offset:1664
	ds_write_b128 v210, v[52:55] offset:7488
	ds_write_b128 v210, v[8:11] offset:13312
	ds_write_b128 v210, v[56:59] offset:2496
	ds_write_b128 v210, v[60:63] offset:8320
	ds_write_b128 v210, v[12:15] offset:14144
	ds_write_b128 v210, v[64:67] offset:3328
	ds_write_b128 v210, v[68:71] offset:9152
	ds_write_b128 v210, v[16:19] offset:14976
	ds_write_b128 v210, v[72:75] offset:4160
	ds_write_b128 v210, v[76:79] offset:9984
	ds_write_b128 v210, v[20:23] offset:15808
	ds_write_b128 v210, v[80:83] offset:4992
	ds_write_b128 v210, v[84:87] offset:10816
	ds_write_b128 v210, v[24:27] offset:16640
	s_waitcnt lgkmcnt(0)
	; wave barrier
	s_waitcnt lgkmcnt(0)
	ds_read_b128 v[0:3], v210
	v_mov_b32_e32 v34, v33
	v_accvgpr_read_b32 v10, a16
	v_mad_u64_u32 v[4:5], s[2:3], s11, v140, v[34:35]
	v_accvgpr_read_b32 v12, a18
	v_accvgpr_read_b32 v13, a19
	v_mov_b32_e32 v33, v4
	ds_read_b128 v[4:7], v210 offset:832
	v_accvgpr_read_b32 v11, a17
	s_waitcnt lgkmcnt(1)
	v_mul_f64 v[8:9], v[12:13], v[2:3]
	v_fmac_f64_e32 v[8:9], v[10:11], v[0:1]
	s_mov_b32 s2, 0x1e01e01e
	v_mul_f64 v[0:1], v[12:13], v[0:1]
	s_mov_b32 s3, 0x3f4e01e0
	v_fma_f64 v[0:1], v[10:11], v[2:3], -v[0:1]
	v_accvgpr_read_b32 v3, a2
	v_mul_f64 v[10:11], v[0:1], s[2:3]
	v_mad_u64_u32 v[0:1], s[4:5], s8, v3, 0
	v_mov_b32_e32 v2, v1
	v_mad_u64_u32 v[2:3], s[4:5], s9, v3, v[2:3]
	v_mov_b32_e32 v1, v2
	v_lshlrev_b64 v[2:3], 4, v[32:33]
	v_mov_b32_e32 v12, s13
	v_add_co_u32_e32 v14, vcc, s12, v2
	v_addc_co_u32_e32 v15, vcc, v12, v3, vcc
	v_lshlrev_b64 v[12:13], 4, v[0:1]
	ds_read_b128 v[0:3], v210 offset:8736
	v_add_co_u32_e32 v16, vcc, v14, v12
	v_accvgpr_read_b32 v21, a11
	v_mul_f64 v[8:9], v[8:9], s[2:3]
	v_addc_co_u32_e32 v17, vcc, v15, v13, vcc
	v_accvgpr_read_b32 v20, a10
	global_store_dwordx4 v[16:17], v[8:11], off
	ds_read_b128 v[8:11], v210 offset:9568
	v_accvgpr_read_b32 v19, a9
	v_accvgpr_read_b32 v18, a8
	s_waitcnt lgkmcnt(1)
	v_mul_f64 v[12:13], v[20:21], v[2:3]
	s_mul_i32 s4, s9, 0x222
	s_mul_hi_u32 s5, s8, 0x222
	v_fmac_f64_e32 v[12:13], v[18:19], v[0:1]
	v_mul_f64 v[0:1], v[20:21], v[0:1]
	s_add_i32 s5, s5, s4
	s_mul_i32 s4, s8, 0x222
	v_fma_f64 v[0:1], v[18:19], v[2:3], -v[0:1]
	s_lshl_b64 s[4:5], s[4:5], 4
	v_mul_f64 v[14:15], v[0:1], s[2:3]
	v_mov_b32_e32 v1, s5
	v_add_co_u32_e32 v16, vcc, s4, v16
	v_mul_f64 v[12:13], v[12:13], s[2:3]
	v_addc_co_u32_e32 v17, vcc, v17, v1, vcc
	global_store_dwordx4 v[16:17], v[12:15], off
	s_mul_hi_u32 s7, s8, 0xfffffe12
	v_accvgpr_read_b32 v12, a50
	v_accvgpr_read_b32 v14, a52
	v_accvgpr_read_b32 v15, a53
	s_mul_i32 s6, s9, 0xfffffe12
	s_sub_i32 s7, s7, s8
	v_accvgpr_read_b32 v13, a51
	v_mul_f64 v[2:3], v[14:15], v[6:7]
	s_add_i32 s7, s7, s6
	s_mul_i32 s6, s8, 0xfffffe12
	v_fmac_f64_e32 v[2:3], v[12:13], v[4:5]
	v_mul_f64 v[4:5], v[14:15], v[4:5]
	s_lshl_b64 s[6:7], s[6:7], 4
	v_fma_f64 v[4:5], v[12:13], v[6:7], -v[4:5]
	v_mov_b32_e32 v0, s7
	v_add_co_u32_e32 v12, vcc, s6, v16
	v_addc_co_u32_e32 v13, vcc, v17, v0, vcc
	v_accvgpr_read_b32 v14, a66
	v_mul_f64 v[2:3], v[2:3], s[2:3]
	v_mul_f64 v[4:5], v[4:5], s[2:3]
	v_accvgpr_read_b32 v16, a68
	v_accvgpr_read_b32 v17, a69
	global_store_dwordx4 v[12:13], v[2:5], off
	v_accvgpr_read_b32 v15, a67
	s_waitcnt lgkmcnt(0)
	v_mul_f64 v[2:3], v[16:17], v[10:11]
	v_fmac_f64_e32 v[2:3], v[14:15], v[8:9]
	v_mul_f64 v[4:5], v[16:17], v[8:9]
	ds_read_b128 v[6:9], v210 offset:1664
	v_fma_f64 v[4:5], v[14:15], v[10:11], -v[4:5]
	v_add_co_u32_e32 v14, vcc, s4, v12
	v_accvgpr_read_b32 v16, a82
	v_mul_f64 v[2:3], v[2:3], s[2:3]
	v_mul_f64 v[4:5], v[4:5], s[2:3]
	v_addc_co_u32_e32 v15, vcc, v13, v1, vcc
	v_accvgpr_read_b32 v18, a84
	v_accvgpr_read_b32 v19, a85
	global_store_dwordx4 v[14:15], v[2:5], off
	ds_read_b128 v[2:5], v210 offset:2496
	v_accvgpr_read_b32 v17, a83
	s_waitcnt lgkmcnt(1)
	v_mul_f64 v[10:11], v[18:19], v[8:9]
	v_fmac_f64_e32 v[10:11], v[16:17], v[6:7]
	v_mul_f64 v[6:7], v[18:19], v[6:7]
	v_fma_f64 v[6:7], v[16:17], v[8:9], -v[6:7]
	v_mul_f64 v[12:13], v[6:7], s[2:3]
	ds_read_b128 v[6:9], v210 offset:10400
	v_add_co_u32_e32 v18, vcc, s6, v14
	v_accvgpr_read_b32 v20, a78
	v_mul_f64 v[10:11], v[10:11], s[2:3]
	v_addc_co_u32_e32 v19, vcc, v15, v0, vcc
	v_accvgpr_read_b32 v22, a80
	v_accvgpr_read_b32 v23, a81
	global_store_dwordx4 v[18:19], v[10:13], off
	ds_read_b128 v[10:13], v210 offset:11232
	v_accvgpr_read_b32 v21, a79
	s_waitcnt lgkmcnt(1)
	v_mul_f64 v[14:15], v[22:23], v[8:9]
	v_fmac_f64_e32 v[14:15], v[20:21], v[6:7]
	v_mul_f64 v[6:7], v[22:23], v[6:7]
	v_fma_f64 v[6:7], v[20:21], v[8:9], -v[6:7]
	v_add_co_u32_e32 v18, vcc, s4, v18
	v_mul_f64 v[14:15], v[14:15], s[2:3]
	v_mul_f64 v[16:17], v[6:7], s[2:3]
	v_addc_co_u32_e32 v19, vcc, v19, v1, vcc
	global_store_dwordx4 v[18:19], v[14:17], off
	v_accvgpr_read_b32 v20, a20
	v_accvgpr_read_b32 v14, a58
	;; [unrolled: 1-line block ×5, first 2 shown]
	v_mul_f64 v[6:7], v[16:17], v[4:5]
	v_fmac_f64_e32 v[6:7], v[14:15], v[2:3]
	v_mul_f64 v[2:3], v[16:17], v[2:3]
	v_fma_f64 v[2:3], v[14:15], v[4:5], -v[2:3]
	v_add_co_u32_e32 v14, vcc, s6, v18
	v_mul_f64 v[6:7], v[6:7], s[2:3]
	v_mul_f64 v[8:9], v[2:3], s[2:3]
	v_addc_co_u32_e32 v15, vcc, v19, v0, vcc
	global_store_dwordx4 v[14:15], v[6:9], off
	v_add_co_u32_e32 v14, vcc, s4, v14
	v_accvgpr_read_b32 v6, a70
	v_accvgpr_read_b32 v8, a72
	;; [unrolled: 1-line block ×4, first 2 shown]
	s_waitcnt lgkmcnt(0)
	v_mul_f64 v[2:3], v[8:9], v[12:13]
	v_mul_f64 v[4:5], v[8:9], v[10:11]
	v_fmac_f64_e32 v[2:3], v[6:7], v[10:11]
	v_fma_f64 v[4:5], v[6:7], v[12:13], -v[4:5]
	ds_read_b128 v[6:9], v210 offset:3328
	v_accvgpr_read_b32 v16, a28
	v_mul_f64 v[2:3], v[2:3], s[2:3]
	v_mul_f64 v[4:5], v[4:5], s[2:3]
	v_addc_co_u32_e32 v15, vcc, v15, v1, vcc
	v_accvgpr_read_b32 v18, a30
	v_accvgpr_read_b32 v19, a31
	global_store_dwordx4 v[14:15], v[2:5], off
	ds_read_b128 v[2:5], v210 offset:4160
	v_accvgpr_read_b32 v17, a29
	s_waitcnt lgkmcnt(1)
	v_mul_f64 v[10:11], v[18:19], v[8:9]
	v_fmac_f64_e32 v[10:11], v[16:17], v[6:7]
	v_mul_f64 v[6:7], v[18:19], v[6:7]
	v_fma_f64 v[6:7], v[16:17], v[8:9], -v[6:7]
	v_mul_f64 v[12:13], v[6:7], s[2:3]
	ds_read_b128 v[6:9], v210 offset:12064
	v_add_co_u32_e32 v18, vcc, s6, v14
	v_mul_f64 v[10:11], v[10:11], s[2:3]
	v_addc_co_u32_e32 v19, vcc, v15, v0, vcc
	v_accvgpr_read_b32 v22, a22
	v_accvgpr_read_b32 v23, a23
	global_store_dwordx4 v[18:19], v[10:13], off
	ds_read_b128 v[10:13], v210 offset:12896
	v_accvgpr_read_b32 v21, a21
	s_waitcnt lgkmcnt(1)
	v_mul_f64 v[14:15], v[22:23], v[8:9]
	v_fmac_f64_e32 v[14:15], v[20:21], v[6:7]
	v_mul_f64 v[6:7], v[22:23], v[6:7]
	v_fma_f64 v[6:7], v[20:21], v[8:9], -v[6:7]
	v_add_co_u32_e32 v18, vcc, s4, v18
	v_mul_f64 v[14:15], v[14:15], s[2:3]
	v_mul_f64 v[16:17], v[6:7], s[2:3]
	v_addc_co_u32_e32 v19, vcc, v19, v1, vcc
	global_store_dwordx4 v[18:19], v[14:17], off
	v_accvgpr_read_b32 v20, a24
	v_accvgpr_read_b32 v14, a54
	;; [unrolled: 1-line block ×5, first 2 shown]
	v_mul_f64 v[6:7], v[16:17], v[4:5]
	v_fmac_f64_e32 v[6:7], v[14:15], v[2:3]
	v_mul_f64 v[2:3], v[16:17], v[2:3]
	v_fma_f64 v[2:3], v[14:15], v[4:5], -v[2:3]
	v_add_co_u32_e32 v14, vcc, s6, v18
	v_mul_f64 v[6:7], v[6:7], s[2:3]
	v_mul_f64 v[8:9], v[2:3], s[2:3]
	v_addc_co_u32_e32 v15, vcc, v19, v0, vcc
	global_store_dwordx4 v[14:15], v[6:9], off
	v_add_co_u32_e32 v14, vcc, s4, v14
	v_accvgpr_read_b32 v6, a74
	v_accvgpr_read_b32 v8, a76
	;; [unrolled: 1-line block ×4, first 2 shown]
	s_waitcnt lgkmcnt(0)
	v_mul_f64 v[2:3], v[8:9], v[12:13]
	v_mul_f64 v[4:5], v[8:9], v[10:11]
	v_fmac_f64_e32 v[2:3], v[6:7], v[10:11]
	v_fma_f64 v[4:5], v[6:7], v[12:13], -v[4:5]
	ds_read_b128 v[6:9], v210 offset:4992
	v_accvgpr_read_b32 v16, a32
	v_mul_f64 v[2:3], v[2:3], s[2:3]
	v_mul_f64 v[4:5], v[4:5], s[2:3]
	v_addc_co_u32_e32 v15, vcc, v15, v1, vcc
	v_accvgpr_read_b32 v18, a34
	v_accvgpr_read_b32 v19, a35
	global_store_dwordx4 v[14:15], v[2:5], off
	ds_read_b128 v[2:5], v210 offset:5824
	v_accvgpr_read_b32 v17, a33
	s_waitcnt lgkmcnt(1)
	v_mul_f64 v[10:11], v[18:19], v[8:9]
	v_fmac_f64_e32 v[10:11], v[16:17], v[6:7]
	v_mul_f64 v[6:7], v[18:19], v[6:7]
	v_fma_f64 v[6:7], v[16:17], v[8:9], -v[6:7]
	v_mul_f64 v[12:13], v[6:7], s[2:3]
	ds_read_b128 v[6:9], v210 offset:13728
	v_add_co_u32_e32 v18, vcc, s6, v14
	v_mul_f64 v[10:11], v[10:11], s[2:3]
	v_addc_co_u32_e32 v19, vcc, v15, v0, vcc
	v_accvgpr_read_b32 v22, a26
	v_accvgpr_read_b32 v23, a27
	global_store_dwordx4 v[18:19], v[10:13], off
	ds_read_b128 v[10:13], v210 offset:14560
	v_accvgpr_read_b32 v21, a25
	s_waitcnt lgkmcnt(1)
	v_mul_f64 v[14:15], v[22:23], v[8:9]
	v_fmac_f64_e32 v[14:15], v[20:21], v[6:7]
	v_mul_f64 v[6:7], v[22:23], v[6:7]
	v_fma_f64 v[6:7], v[20:21], v[8:9], -v[6:7]
	v_add_co_u32_e32 v18, vcc, s4, v18
	v_mul_f64 v[14:15], v[14:15], s[2:3]
	v_mul_f64 v[16:17], v[6:7], s[2:3]
	v_addc_co_u32_e32 v19, vcc, v19, v1, vcc
	global_store_dwordx4 v[18:19], v[14:17], off
	v_accvgpr_read_b32 v23, a7
	v_accvgpr_read_b32 v14, a44
	;; [unrolled: 1-line block ×5, first 2 shown]
	v_mul_f64 v[6:7], v[16:17], v[4:5]
	v_fmac_f64_e32 v[6:7], v[14:15], v[2:3]
	v_mul_f64 v[2:3], v[16:17], v[2:3]
	v_fma_f64 v[2:3], v[14:15], v[4:5], -v[2:3]
	v_add_co_u32_e32 v14, vcc, s6, v18
	v_mul_f64 v[6:7], v[6:7], s[2:3]
	v_mul_f64 v[8:9], v[2:3], s[2:3]
	v_addc_co_u32_e32 v15, vcc, v19, v0, vcc
	global_store_dwordx4 v[14:15], v[6:9], off
	v_add_co_u32_e32 v14, vcc, s4, v14
	v_accvgpr_read_b32 v6, a62
	v_accvgpr_read_b32 v8, a64
	v_accvgpr_read_b32 v9, a65
	v_accvgpr_read_b32 v7, a63
	s_waitcnt lgkmcnt(0)
	v_mul_f64 v[2:3], v[8:9], v[12:13]
	v_mul_f64 v[4:5], v[8:9], v[10:11]
	v_fmac_f64_e32 v[2:3], v[6:7], v[10:11]
	v_fma_f64 v[4:5], v[6:7], v[12:13], -v[4:5]
	ds_read_b128 v[6:9], v210 offset:6656
	v_accvgpr_read_b32 v19, a15
	v_mul_f64 v[2:3], v[2:3], s[2:3]
	v_mul_f64 v[4:5], v[4:5], s[2:3]
	v_addc_co_u32_e32 v15, vcc, v15, v1, vcc
	v_accvgpr_read_b32 v18, a14
	global_store_dwordx4 v[14:15], v[2:5], off
	ds_read_b128 v[2:5], v210 offset:7488
	v_accvgpr_read_b32 v17, a13
	v_accvgpr_read_b32 v16, a12
	s_waitcnt lgkmcnt(1)
	v_mul_f64 v[10:11], v[18:19], v[8:9]
	v_fmac_f64_e32 v[10:11], v[16:17], v[6:7]
	v_mul_f64 v[6:7], v[18:19], v[6:7]
	v_fma_f64 v[6:7], v[16:17], v[8:9], -v[6:7]
	v_mul_f64 v[12:13], v[6:7], s[2:3]
	ds_read_b128 v[6:9], v210 offset:15392
	v_add_co_u32_e32 v18, vcc, s6, v14
	v_mul_f64 v[10:11], v[10:11], s[2:3]
	v_addc_co_u32_e32 v19, vcc, v15, v0, vcc
	v_accvgpr_read_b32 v22, a6
	global_store_dwordx4 v[18:19], v[10:13], off
	ds_read_b128 v[10:13], v210 offset:16224
	v_accvgpr_read_b32 v21, a5
	v_accvgpr_read_b32 v20, a4
	s_waitcnt lgkmcnt(1)
	v_mul_f64 v[14:15], v[22:23], v[8:9]
	v_fmac_f64_e32 v[14:15], v[20:21], v[6:7]
	v_mul_f64 v[6:7], v[22:23], v[6:7]
	v_fma_f64 v[6:7], v[20:21], v[8:9], -v[6:7]
	v_add_co_u32_e32 v18, vcc, s4, v18
	v_mul_f64 v[14:15], v[14:15], s[2:3]
	v_mul_f64 v[16:17], v[6:7], s[2:3]
	v_addc_co_u32_e32 v19, vcc, v19, v1, vcc
	global_store_dwordx4 v[18:19], v[14:17], off
	s_nop 0
	v_accvgpr_read_b32 v14, a36
	v_accvgpr_read_b32 v16, a38
	;; [unrolled: 1-line block ×4, first 2 shown]
	v_mul_f64 v[6:7], v[16:17], v[4:5]
	v_fmac_f64_e32 v[6:7], v[14:15], v[2:3]
	v_mul_f64 v[2:3], v[16:17], v[2:3]
	v_fma_f64 v[2:3], v[14:15], v[4:5], -v[2:3]
	v_add_co_u32_e32 v14, vcc, s6, v18
	v_mul_f64 v[6:7], v[6:7], s[2:3]
	v_mul_f64 v[8:9], v[2:3], s[2:3]
	v_addc_co_u32_e32 v15, vcc, v19, v0, vcc
	global_store_dwordx4 v[14:15], v[6:9], off
	v_add_co_u32_e32 v0, vcc, s4, v14
	v_accvgpr_read_b32 v6, a40
	v_accvgpr_read_b32 v8, a42
	;; [unrolled: 1-line block ×4, first 2 shown]
	s_waitcnt lgkmcnt(0)
	v_mul_f64 v[2:3], v[8:9], v[12:13]
	v_mul_f64 v[4:5], v[8:9], v[10:11]
	v_fmac_f64_e32 v[2:3], v[6:7], v[10:11]
	v_fma_f64 v[4:5], v[6:7], v[12:13], -v[4:5]
	v_mul_f64 v[2:3], v[2:3], s[2:3]
	v_mul_f64 v[4:5], v[4:5], s[2:3]
	v_addc_co_u32_e32 v1, vcc, v15, v1, vcc
	global_store_dwordx4 v[0:1], v[2:5], off
	s_and_b64 exec, exec, s[0:1]
	s_cbranch_execz .LBB0_31
; %bb.30:
	v_accvgpr_read_b32 v16, a0
	v_add_co_u32_e32 v2, vcc, 0x2000, v16
	v_accvgpr_read_b32 v17, a1
	v_addc_co_u32_e32 v3, vcc, 0, v17, vcc
	global_load_dwordx4 v[2:5], v[2:3], off offset:128
	ds_read_b128 v[6:9], v210 offset:8320
	ds_read_b128 v[10:13], v210 offset:17056
	v_mov_b32_e32 v15, s7
	v_add_co_u32_e32 v14, vcc, s6, v0
	v_addc_co_u32_e32 v15, vcc, v1, v15, vcc
	s_movk_i32 s0, 0x4000
	v_add_co_u32_e32 v16, vcc, s0, v16
	v_addc_co_u32_e32 v17, vcc, 0, v17, vcc
	s_waitcnt vmcnt(0) lgkmcnt(1)
	v_mul_f64 v[0:1], v[8:9], v[4:5]
	v_mul_f64 v[4:5], v[6:7], v[4:5]
	v_fmac_f64_e32 v[0:1], v[6:7], v[2:3]
	v_fma_f64 v[2:3], v[2:3], v[8:9], -v[4:5]
	v_mul_f64 v[0:1], v[0:1], s[2:3]
	v_mul_f64 v[2:3], v[2:3], s[2:3]
	global_store_dwordx4 v[14:15], v[0:3], off
	global_load_dwordx4 v[0:3], v[16:17], off offset:672
	v_mov_b32_e32 v6, s5
	s_waitcnt vmcnt(0) lgkmcnt(0)
	v_mul_f64 v[4:5], v[12:13], v[2:3]
	v_mul_f64 v[2:3], v[10:11], v[2:3]
	v_fmac_f64_e32 v[4:5], v[10:11], v[0:1]
	v_fma_f64 v[2:3], v[0:1], v[12:13], -v[2:3]
	v_mul_f64 v[0:1], v[4:5], s[2:3]
	v_add_co_u32_e32 v4, vcc, s4, v14
	v_mul_f64 v[2:3], v[2:3], s[2:3]
	v_addc_co_u32_e32 v5, vcc, v15, v6, vcc
	global_store_dwordx4 v[4:5], v[0:3], off
.LBB0_31:
	s_endpgm
	.section	.rodata,"a",@progbits
	.p2align	6, 0x0
	.amdhsa_kernel bluestein_single_back_len1092_dim1_dp_op_CI_CI
		.amdhsa_group_segment_fixed_size 17472
		.amdhsa_private_segment_fixed_size 0
		.amdhsa_kernarg_size 104
		.amdhsa_user_sgpr_count 6
		.amdhsa_user_sgpr_private_segment_buffer 1
		.amdhsa_user_sgpr_dispatch_ptr 0
		.amdhsa_user_sgpr_queue_ptr 0
		.amdhsa_user_sgpr_kernarg_segment_ptr 1
		.amdhsa_user_sgpr_dispatch_id 0
		.amdhsa_user_sgpr_flat_scratch_init 0
		.amdhsa_user_sgpr_kernarg_preload_length 0
		.amdhsa_user_sgpr_kernarg_preload_offset 0
		.amdhsa_user_sgpr_private_segment_size 0
		.amdhsa_uses_dynamic_stack 0
		.amdhsa_system_sgpr_private_segment_wavefront_offset 0
		.amdhsa_system_sgpr_workgroup_id_x 1
		.amdhsa_system_sgpr_workgroup_id_y 0
		.amdhsa_system_sgpr_workgroup_id_z 0
		.amdhsa_system_sgpr_workgroup_info 0
		.amdhsa_system_vgpr_workitem_id 0
		.amdhsa_next_free_vgpr 470
		.amdhsa_next_free_sgpr 56
		.amdhsa_accum_offset 256
		.amdhsa_reserve_vcc 1
		.amdhsa_reserve_flat_scratch 0
		.amdhsa_float_round_mode_32 0
		.amdhsa_float_round_mode_16_64 0
		.amdhsa_float_denorm_mode_32 3
		.amdhsa_float_denorm_mode_16_64 3
		.amdhsa_dx10_clamp 1
		.amdhsa_ieee_mode 1
		.amdhsa_fp16_overflow 0
		.amdhsa_tg_split 0
		.amdhsa_exception_fp_ieee_invalid_op 0
		.amdhsa_exception_fp_denorm_src 0
		.amdhsa_exception_fp_ieee_div_zero 0
		.amdhsa_exception_fp_ieee_overflow 0
		.amdhsa_exception_fp_ieee_underflow 0
		.amdhsa_exception_fp_ieee_inexact 0
		.amdhsa_exception_int_div_zero 0
	.end_amdhsa_kernel
	.text
.Lfunc_end0:
	.size	bluestein_single_back_len1092_dim1_dp_op_CI_CI, .Lfunc_end0-bluestein_single_back_len1092_dim1_dp_op_CI_CI
                                        ; -- End function
	.section	.AMDGPU.csdata,"",@progbits
; Kernel info:
; codeLenInByte = 38292
; NumSgprs: 60
; NumVgprs: 256
; NumAgprs: 214
; TotalNumVgprs: 470
; ScratchSize: 0
; MemoryBound: 0
; FloatMode: 240
; IeeeMode: 1
; LDSByteSize: 17472 bytes/workgroup (compile time only)
; SGPRBlocks: 7
; VGPRBlocks: 58
; NumSGPRsForWavesPerEU: 60
; NumVGPRsForWavesPerEU: 470
; AccumOffset: 256
; Occupancy: 1
; WaveLimiterHint : 1
; COMPUTE_PGM_RSRC2:SCRATCH_EN: 0
; COMPUTE_PGM_RSRC2:USER_SGPR: 6
; COMPUTE_PGM_RSRC2:TRAP_HANDLER: 0
; COMPUTE_PGM_RSRC2:TGID_X_EN: 1
; COMPUTE_PGM_RSRC2:TGID_Y_EN: 0
; COMPUTE_PGM_RSRC2:TGID_Z_EN: 0
; COMPUTE_PGM_RSRC2:TIDIG_COMP_CNT: 0
; COMPUTE_PGM_RSRC3_GFX90A:ACCUM_OFFSET: 63
; COMPUTE_PGM_RSRC3_GFX90A:TG_SPLIT: 0
	.text
	.p2alignl 6, 3212836864
	.fill 256, 4, 3212836864
	.type	__hip_cuid_9493f798c9021433,@object ; @__hip_cuid_9493f798c9021433
	.section	.bss,"aw",@nobits
	.globl	__hip_cuid_9493f798c9021433
__hip_cuid_9493f798c9021433:
	.byte	0                               ; 0x0
	.size	__hip_cuid_9493f798c9021433, 1

	.ident	"AMD clang version 19.0.0git (https://github.com/RadeonOpenCompute/llvm-project roc-6.4.0 25133 c7fe45cf4b819c5991fe208aaa96edf142730f1d)"
	.section	".note.GNU-stack","",@progbits
	.addrsig
	.addrsig_sym __hip_cuid_9493f798c9021433
	.amdgpu_metadata
---
amdhsa.kernels:
  - .agpr_count:     214
    .args:
      - .actual_access:  read_only
        .address_space:  global
        .offset:         0
        .size:           8
        .value_kind:     global_buffer
      - .actual_access:  read_only
        .address_space:  global
        .offset:         8
        .size:           8
        .value_kind:     global_buffer
      - .actual_access:  read_only
        .address_space:  global
        .offset:         16
        .size:           8
        .value_kind:     global_buffer
      - .actual_access:  read_only
        .address_space:  global
        .offset:         24
        .size:           8
        .value_kind:     global_buffer
      - .actual_access:  read_only
        .address_space:  global
        .offset:         32
        .size:           8
        .value_kind:     global_buffer
      - .offset:         40
        .size:           8
        .value_kind:     by_value
      - .address_space:  global
        .offset:         48
        .size:           8
        .value_kind:     global_buffer
      - .address_space:  global
        .offset:         56
        .size:           8
        .value_kind:     global_buffer
      - .address_space:  global
        .offset:         64
        .size:           8
        .value_kind:     global_buffer
      - .address_space:  global
        .offset:         72
        .size:           8
        .value_kind:     global_buffer
      - .offset:         80
        .size:           4
        .value_kind:     by_value
      - .address_space:  global
        .offset:         88
        .size:           8
        .value_kind:     global_buffer
      - .address_space:  global
        .offset:         96
        .size:           8
        .value_kind:     global_buffer
    .group_segment_fixed_size: 17472
    .kernarg_segment_align: 8
    .kernarg_segment_size: 104
    .language:       OpenCL C
    .language_version:
      - 2
      - 0
    .max_flat_workgroup_size: 52
    .name:           bluestein_single_back_len1092_dim1_dp_op_CI_CI
    .private_segment_fixed_size: 0
    .sgpr_count:     60
    .sgpr_spill_count: 0
    .symbol:         bluestein_single_back_len1092_dim1_dp_op_CI_CI.kd
    .uniform_work_group_size: 1
    .uses_dynamic_stack: false
    .vgpr_count:     470
    .vgpr_spill_count: 0
    .wavefront_size: 64
amdhsa.target:   amdgcn-amd-amdhsa--gfx90a
amdhsa.version:
  - 1
  - 2
...

	.end_amdgpu_metadata
